;; amdgpu-corpus repo=ROCm/Tensile kind=harvested arch=n/a opt=n/a

/******************************************/
/* Function Prefix                        */
/******************************************/



/******************************************/
/* Begin Kernel                           */
/******************************************/

// Component.Signature.SignatureDefault
.amdgcn_target "amdgcn-amd-amdhsa--gfx908"
.text
.protected Cijk_Ailk_Bjlk_SB_MT64x64x32_MI16x16x4x1_SE_1LDSB0_APM1_AF0EM4_AF1EM1_AMAS0_ASE_ASAE01_ASCE01_ASEM1_BL1_DTLA0_DTLB0_DVO0_EPS1_FL1_GLVWA4_GLVWB4_GRVW4_GSU1_GSUASB_ISA908_IU2_K1_KLA_LBSPPA0_LBSPPB0_LPA0_LPB0_LDL1_LRVW1_LDW0_MAC_MDA2_MMFGLC_NTC0_NTD0_NEPBS0_NLCA1_NLCB1_ONLL1_OPLV0_PK0_PAP0_PGR1_PLR1_SIA3_SS0_SU32_SUM0_SUS256_SPO0_SRVW4_SSO0_SVW4_SNLL0_TT4_16_TLDS1_UMLDSA0_UMLDSB0_USFGROn1_VAW1_VSn1_VW1_VWB1_WSGRA0_WSGRB0_WG16_16_1_WGM1
.globl Cijk_Ailk_Bjlk_SB_MT64x64x32_MI16x16x4x1_SE_1LDSB0_APM1_AF0EM4_AF1EM1_AMAS0_ASE_ASAE01_ASCE01_ASEM1_BL1_DTLA0_DTLB0_DVO0_EPS1_FL1_GLVWA4_GLVWB4_GRVW4_GSU1_GSUASB_ISA908_IU2_K1_KLA_LBSPPA0_LBSPPB0_LPA0_LPB0_LDL1_LRVW1_LDW0_MAC_MDA2_MMFGLC_NTC0_NTD0_NEPBS0_NLCA1_NLCB1_ONLL1_OPLV0_PK0_PAP0_PGR1_PLR1_SIA3_SS0_SU32_SUM0_SUS256_SPO0_SRVW4_SSO0_SVW4_SNLL0_TT4_16_TLDS1_UMLDSA0_UMLDSB0_USFGROn1_VAW1_VSn1_VW1_VWB1_WSGRA0_WSGRB0_WG16_16_1_WGM1
.p2align 8
.type Cijk_Ailk_Bjlk_SB_MT64x64x32_MI16x16x4x1_SE_1LDSB0_APM1_AF0EM4_AF1EM1_AMAS0_ASE_ASAE01_ASCE01_ASEM1_BL1_DTLA0_DTLB0_DVO0_EPS1_FL1_GLVWA4_GLVWB4_GRVW4_GSU1_GSUASB_ISA908_IU2_K1_KLA_LBSPPA0_LBSPPB0_LPA0_LPB0_LDL1_LRVW1_LDW0_MAC_MDA2_MMFGLC_NTC0_NTD0_NEPBS0_NLCA1_NLCB1_ONLL1_OPLV0_PK0_PAP0_PGR1_PLR1_SIA3_SS0_SU32_SUM0_SUS256_SPO0_SRVW4_SSO0_SVW4_SNLL0_TT4_16_TLDS1_UMLDSA0_UMLDSB0_USFGROn1_VAW1_VSn1_VW1_VWB1_WSGRA0_WSGRB0_WG16_16_1_WGM1,@function
.section .rodata,#alloc
.p2align 6
.amdhsa_kernel Cijk_Ailk_Bjlk_SB_MT64x64x32_MI16x16x4x1_SE_1LDSB0_APM1_AF0EM4_AF1EM1_AMAS0_ASE_ASAE01_ASCE01_ASEM1_BL1_DTLA0_DTLB0_DVO0_EPS1_FL1_GLVWA4_GLVWB4_GRVW4_GSU1_GSUASB_ISA908_IU2_K1_KLA_LBSPPA0_LBSPPB0_LPA0_LPB0_LDL1_LRVW1_LDW0_MAC_MDA2_MMFGLC_NTC0_NTD0_NEPBS0_NLCA1_NLCB1_ONLL1_OPLV0_PK0_PAP0_PGR1_PLR1_SIA3_SS0_SU32_SUM0_SUS256_SPO0_SRVW4_SSO0_SVW4_SNLL0_TT4_16_TLDS1_UMLDSA0_UMLDSB0_USFGROn1_VAW1_VSn1_VW1_VWB1_WSGRA0_WSGRB0_WG16_16_1_WGM1
  .amdhsa_user_sgpr_kernarg_segment_ptr 1
  .amdhsa_user_sgpr_count 2
  .amdhsa_next_free_vgpr 128 // vgprs
  .amdhsa_next_free_sgpr 60 // sgprs
  .amdhsa_group_segment_fixed_size 32768 // lds bytes
  .amdhsa_private_segment_fixed_size 0
  .amdhsa_system_sgpr_workgroup_id_x 1
  .amdhsa_system_sgpr_workgroup_id_y 1
  .amdhsa_system_sgpr_workgroup_id_z 1
  .amdhsa_system_vgpr_workitem_id 0
  .amdhsa_float_denorm_mode_32 3
  .amdhsa_float_denorm_mode_16_64 3
.end_amdhsa_kernel
.text

/******************************************/
/* Optimizations and Config:              */
/******************************************/
/* ThreadTile= 16 x 1 */
/* SubGroup= 4 x 64 */
/* VectorWidthA=1 */
/* VectorWidthB=1 */
/* GlobalLoadVectorWidthA=4, GlobalLoadVectorWidthB=4 */
/* DirectToLdsA=False */
/* DirectToLdsB=False */
/* UseSgprForGRO=False */
.amdgpu_metadata
---
amdhsa.version:
  - 1
  - 1
amdhsa.target: amdgcn-amd-amdhsa--gfx908
amdhsa.kernels:
  - .name: Cijk_Ailk_Bjlk_SB_MT64x64x32_MI16x16x4x1_SE_1LDSB0_APM1_AF0EM4_AF1EM1_AMAS0_ASE_ASAE01_ASCE01_ASEM1_BL1_DTLA0_DTLB0_DVO0_EPS1_FL1_GLVWA4_GLVWB4_GRVW4_GSU1_GSUASB_ISA908_IU2_K1_KLA_LBSPPA0_LBSPPB0_LPA0_LPB0_LDL1_LRVW1_LDW0_MAC_MDA2_MMFGLC_NTC0_NTD0_NEPBS0_NLCA1_NLCB1_ONLL1_OPLV0_PK0_PAP0_PGR1_PLR1_SIA3_SS0_SU32_SUM0_SUS256_SPO0_SRVW4_SSO0_SVW4_SNLL0_TT4_16_TLDS1_UMLDSA0_UMLDSB0_USFGROn1_VAW1_VSn1_VW1_VWB1_WSGRA0_WSGRB0_WG16_16_1_WGM1
    .symbol: 'Cijk_Ailk_Bjlk_SB_MT64x64x32_MI16x16x4x1_SE_1LDSB0_APM1_AF0EM4_AF1EM1_AMAS0_ASE_ASAE01_ASCE01_ASEM1_BL1_DTLA0_DTLB0_DVO0_EPS1_FL1_GLVWA4_GLVWB4_GRVW4_GSU1_GSUASB_ISA908_IU2_K1_KLA_LBSPPA0_LBSPPB0_LPA0_LPB0_LDL1_LRVW1_LDW0_MAC_MDA2_MMFGLC_NTC0_NTD0_NEPBS0_NLCA1_NLCB1_ONLL1_OPLV0_PK0_PAP0_PGR1_PLR1_SIA3_SS0_SU32_SUM0_SUS256_SPO0_SRVW4_SSO0_SVW4_SNLL0_TT4_16_TLDS1_UMLDSA0_UMLDSB0_USFGROn1_VAW1_VSn1_VW1_VWB1_WSGRA0_WSGRB0_WG16_16_1_WGM1.kd'
    .language:                   OpenCL C
    .language_version:
      - 2
      - 0
    .args:
      - .name:            Tensor2dSizeA
        .size:            8
        .offset:          0
        .value_kind:      by_value
        .value_type:      u64
      - .name:            Tensor2dSizeB
        .size:            8
        .offset:          8
        .value_kind:      by_value
        .value_type:      u64
      - .name:            AddressD
        .size:            8
        .offset:          16
        .value_kind:      by_value
        .value_type:      u64
      - .name:            AddressC
        .size:            8
        .offset:          24
        .value_kind:      by_value
        .value_type:      u64
      - .name:            AddressA
        .size:            8
        .offset:          32
        .value_kind:      by_value
        .value_type:      u64
      - .name:            AddressB
        .size:            8
        .offset:          40
        .value_kind:      by_value
        .value_type:      u64
      - .name:            Alpha
        .size:            4
        .offset:          48
        .value_kind:      by_value
        .value_type:      u32
      - .name:            Beta
        .size:            4
        .offset:          52
        .value_kind:      by_value
        .value_type:      u32
      - .name:            StridesD
        .size:            8
        .offset:          56
        .value_kind:      by_value
        .value_type:      u64
      - .name:            StridesC
        .size:            8
        .offset:          64
        .value_kind:      by_value
        .value_type:      u64
      - .name:            StridesA
        .size:            8
        .offset:          72
        .value_kind:      by_value
        .value_type:      u64
      - .name:            StridesB
        .size:            8
        .offset:          80
        .value_kind:      by_value
        .value_type:      u64
      - .name:            SizesFree
        .size:            12
        .offset:          88
        .value_kind:      by_value
        .value_type:      u96
      - .name:            SizesSum
        .size:            4
        .offset:          100
        .value_kind:      by_value
        .value_type:      u32
      - .name:            OrigStaggerUIter
        .size:            4
        .offset:          104
        .value_kind:      by_value
        .value_type:      u32
      - .name:            NumWorkGroups0
        .size:            4
        .offset:          108
        .value_kind:      by_value
        .value_type:      u32
      - .name:            NumWorkGroups1
        .size:            4
        .offset:          112
        .value_kind:      by_value
        .value_type:      u32
    .group_segment_fixed_size:   32768
    .kernarg_segment_align:      8
    .kernarg_segment_size:       120
    .max_flat_workgroup_size:    256
    .private_segment_fixed_size: 0
    .sgpr_count:                 60
    .sgpr_spill_count:           0
    .vgpr_count:                 128
    .vgpr_spill_count:           0
    .wavefront_size:             64
...
.end_amdgpu_metadata
Cijk_Ailk_Bjlk_SB_MT64x64x32_MI16x16x4x1_SE_1LDSB0_APM1_AF0EM4_AF1EM1_AMAS0_ASE_ASAE01_ASCE01_ASEM1_BL1_DTLA0_DTLB0_DVO0_EPS1_FL1_GLVWA4_GLVWB4_GRVW4_GSU1_GSUASB_ISA908_IU2_K1_KLA_LBSPPA0_LBSPPB0_LPA0_LPB0_LDL1_LRVW1_LDW0_MAC_MDA2_MMFGLC_NTC0_NTD0_NEPBS0_NLCA1_NLCB1_ONLL1_OPLV0_PK0_PAP0_PGR1_PLR1_SIA3_SS0_SU32_SUM0_SUS256_SPO0_SRVW4_SSO0_SVW4_SNLL0_TT4_16_TLDS1_UMLDSA0_UMLDSB0_USFGROn1_VAW1_VSn1_VW1_VWB1_WSGRA0_WSGRB0_WG16_16_1_WGM1:

/******************************************/
/* Asm syntax workarounds                 */
/******************************************/
.macro _v_add_co_u32 dst:req, cc:req, src0:req, src1:req, dpp=
   v_add_co_u32 \dst, \cc, \src0, \src1 \dpp
.endm

.macro _v_add_u32 dst:req, src0:req, src1:req, dpp=
   v_add_u32 \dst, \src0, \src1 \dpp
.endm

.macro _v_add_i32 dst:req, src0:req, src1:req, dpp=
   v_add_i32 \dst, \src0, \src1 \dpp
.endm

.macro _v_addc_co_u32 dst:req, ccOut:req, src0:req, ccIn:req, src1:req, dpp=
   v_addc_co_u32 \dst, \ccOut, \src0, \ccIn, \src1 \dpp
.endm

.macro _v_sub_co_u32 dst:req, cc:req, src0:req, src1:req, dpp=
   v_sub_co_u32 \dst, \cc, \src0, \src1 \dpp
.endm

.macro _v_sub_u32 dst:req, src0:req, src1:req, dpp=
   v_sub_u32 \dst, \src0, \src1 \dpp
.endm

.macro _v_sub_i32 dst:req, src0:req, src1:req, dpp=
   v_sub_i32 \dst, \src0, \src1 \dpp
.endm

.macro _v_add_lshl_u32 dst:req, src0:req, src1:req, shiftCnt:req
    v_add_lshl_u32 \dst, \src0, \src1, \shiftCnt
.endm

.macro _v_lshl_add_u32 dst:req, src0:req, src1:req, shiftCnt:req
    v_lshl_add_u32 \dst, \src0, \src1, \shiftCnt
.endm

.macro _v_lshl_or_b32 dst:req, src0:req, shiftCnt:req, src1:req
    v_lshl_or_b32 \dst, \src0, \shiftCnt, \src1
.endm

.macro _v_dot2acc_f32_f16 dst, src0, src1
v_dot2c_f32_f16 \dst, \src0, \src1
.endm

.macro _v_cmpx_lt_i16 dst, src0, src1=
   v_cmpx_lt_i16 \dst, \src0, \src1 
.endm

.macro _v_cmpx_lt_i32 dst, src0, src1=
   v_cmpx_lt_i32 \dst, \src0, \src1 
.endm

.macro _v_cmpx_lt_i64 dst, src0, src1=
   v_cmpx_lt_i64 \dst, \src0, \src1 
.endm

.macro _v_cmpx_lt_u16 dst, src0, src1=
   v_cmpx_lt_u16 \dst, \src0, \src1 
.endm

.macro _v_cmpx_lt_u32 dst, src0, src1=
   v_cmpx_lt_u32 \dst, \src0, \src1 
.endm

.macro _v_cmpx_lt_u64 dst, src0, src1=
   v_cmpx_lt_u64 \dst, \src0, \src1 
.endm

.macro _v_cmpx_eq_i16 dst, src0, src1=
   v_cmpx_eq_i16 \dst, \src0, \src1 
.endm

.macro _v_cmpx_eq_i32 dst, src0, src1=
   v_cmpx_eq_i32 \dst, \src0, \src1 
.endm

.macro _v_cmpx_eq_i64 dst, src0, src1=
   v_cmpx_eq_i64 \dst, \src0, \src1 
.endm

.macro _v_cmpx_eq_u16 dst, src0, src1=
   v_cmpx_eq_u16 \dst, \src0, \src1 
.endm

.macro _v_cmpx_eq_u32 dst, src0, src1=
   v_cmpx_eq_u32 \dst, \src0, \src1 
.endm

.macro _v_cmpx_eq_u64 dst, src0, src1=
   v_cmpx_eq_u64 \dst, \src0, \src1 
.endm

.macro _v_cmpx_le_i16 dst, src0, src1=
   v_cmpx_le_i16 \dst, \src0, \src1 
.endm

.macro _v_cmpx_le_i32 dst, src0, src1=
   v_cmpx_le_i32 \dst, \src0, \src1 
.endm

.macro _v_cmpx_le_i64 dst, src0, src1=
   v_cmpx_le_i64 \dst, \src0, \src1 
.endm

.macro _v_cmpx_le_u16 dst, src0, src1=
   v_cmpx_le_u16 \dst, \src0, \src1 
.endm

.macro _v_cmpx_le_u32 dst, src0, src1=
   v_cmpx_le_u32 \dst, \src0, \src1 
.endm

.macro _v_cmpx_le_u64 dst, src0, src1=
   v_cmpx_le_u64 \dst, \src0, \src1 
.endm

.macro _v_cmpx_gt_i16 dst, src0, src1=
   v_cmpx_gt_i16 \dst, \src0, \src1 
.endm

.macro _v_cmpx_gt_i32 dst, src0, src1=
   v_cmpx_gt_i32 \dst, \src0, \src1 
.endm

.macro _v_cmpx_gt_i64 dst, src0, src1=
   v_cmpx_gt_i64 \dst, \src0, \src1 
.endm

.macro _v_cmpx_gt_u16 dst, src0, src1=
   v_cmpx_gt_u16 \dst, \src0, \src1 
.endm

.macro _v_cmpx_gt_u32 dst, src0, src1=
   v_cmpx_gt_u32 \dst, \src0, \src1 
.endm

.macro _v_cmpx_gt_u64 dst, src0, src1=
   v_cmpx_gt_u64 \dst, \src0, \src1 
.endm

.macro _v_cmpx_ne_i16 dst, src0, src1=
   v_cmpx_ne_i16 \dst, \src0, \src1 
.endm

.macro _v_cmpx_ne_i32 dst, src0, src1=
   v_cmpx_ne_i32 \dst, \src0, \src1 
.endm

.macro _v_cmpx_ne_i64 dst, src0, src1=
   v_cmpx_ne_i64 \dst, \src0, \src1 
.endm

.macro _v_cmpx_ne_u16 dst, src0, src1=
   v_cmpx_ne_u16 \dst, \src0, \src1 
.endm

.macro _v_cmpx_ne_u32 dst, src0, src1=
   v_cmpx_ne_u32 \dst, \src0, \src1 
.endm

.macro _v_cmpx_ne_u64 dst, src0, src1=
   v_cmpx_ne_u64 \dst, \src0, \src1 
.endm

.macro _v_cmpx_lg_i16 dst, src0, src1=
   v_cmpx_lg_i16 \dst, \src0, \src1 
.endm

.macro _v_cmpx_lg_i32 dst, src0, src1=
   v_cmpx_lg_i32 \dst, \src0, \src1 
.endm

.macro _v_cmpx_lg_i64 dst, src0, src1=
   v_cmpx_lg_i64 \dst, \src0, \src1 
.endm

.macro _v_cmpx_lg_u16 dst, src0, src1=
   v_cmpx_lg_u16 \dst, \src0, \src1 
.endm

.macro _v_cmpx_lg_u32 dst, src0, src1=
   v_cmpx_lg_u32 \dst, \src0, \src1 
.endm

.macro _v_cmpx_lg_u64 dst, src0, src1=
   v_cmpx_lg_u64 \dst, \src0, \src1 
.endm

.macro _v_cmpx_ge_i16 dst, src0, src1=
   v_cmpx_ge_i16 \dst, \src0, \src1 
.endm

.macro _v_cmpx_ge_i32 dst, src0, src1=
   v_cmpx_ge_i32 \dst, \src0, \src1 
.endm

.macro _v_cmpx_ge_i64 dst, src0, src1=
   v_cmpx_ge_i64 \dst, \src0, \src1 
.endm

.macro _v_cmpx_ge_u16 dst, src0, src1=
   v_cmpx_ge_u16 \dst, \src0, \src1 
.endm

.macro _v_cmpx_ge_u32 dst, src0, src1=
   v_cmpx_ge_u32 \dst, \src0, \src1 
.endm

.macro _v_cmpx_ge_u64 dst, src0, src1=
   v_cmpx_ge_u64 \dst, \src0, \src1 
.endm

.macro _v_cmpx_o_i16 dst, src0, src1=
   v_cmpx_o_i16 \dst, \src0, \src1 
.endm

.macro _v_cmpx_o_i32 dst, src0, src1=
   v_cmpx_o_i32 \dst, \src0, \src1 
.endm

.macro _v_cmpx_o_i64 dst, src0, src1=
   v_cmpx_o_i64 \dst, \src0, \src1 
.endm

.macro _v_cmpx_o_u16 dst, src0, src1=
   v_cmpx_o_u16 \dst, \src0, \src1 
.endm

.macro _v_cmpx_o_u32 dst, src0, src1=
   v_cmpx_o_u32 \dst, \src0, \src1 
.endm

.macro _v_cmpx_o_u64 dst, src0, src1=
   v_cmpx_o_u64 \dst, \src0, \src1 
.endm

.macro _v_cmpx_u_i16 dst, src0, src1=
   v_cmpx_u_i16 \dst, \src0, \src1 
.endm

.macro _v_cmpx_u_i32 dst, src0, src1=
   v_cmpx_u_i32 \dst, \src0, \src1 
.endm

.macro _v_cmpx_u_i64 dst, src0, src1=
   v_cmpx_u_i64 \dst, \src0, \src1 
.endm

.macro _v_cmpx_u_u16 dst, src0, src1=
   v_cmpx_u_u16 \dst, \src0, \src1 
.endm

.macro _v_cmpx_u_u32 dst, src0, src1=
   v_cmpx_u_u32 \dst, \src0, \src1 
.endm

.macro _v_cmpx_u_u64 dst, src0, src1=
   v_cmpx_u_u64 \dst, \src0, \src1 
.endm
.macro _v_mac_f32 c:req, a:req, b:req
    v_mac_f32 \c, \a, \b
.endmacro

/* scale global load macros */
.macro _s_load_b32 dst base offset
    s_load_dword \dst \base \offset
.endm

.macro _s_load_b64 dst base offset
    s_load_dwordx2 \dst \base \offset
.endm

.macro _s_load_b128 dst base offset
    s_load_dwordx4 \dst \base \offset
.endm

.macro _s_load_b256 dst base offset
    s_load_dwordx8 \dst \base \offset
.endm

.macro _s_load_b512 dst base offset
    s_load_dwordx16 \dst \base \offset
.endm


/* ds operation macros */
.macro _ds_load_u8 dst src offset
    ds_read_u8 \dst \src \offset
.endm

.macro _ds_load_u8_d16_hi dst src offset
    ds_read_u8_d16_hi \dst \src \offset
.endm

.macro _ds_load_u16 dst src offset
    ds_read_u16 \dst \src \offset
.endm

.macro _ds_load_u16_d16_hi dst src offset
    ds_read_u16_d16_hi \dst \src \offset
.endm

.macro _ds_load_b32 dst src offset
    ds_read_b32 \dst \src \offset
.endm

.macro _ds_load_b64 dst src offset
    ds_read_b64 \dst \src \offset
.endm

.macro _ds_load_b128 dst src offset
    ds_read_b128 \dst \src \offset
.endm

.macro _ds_store_b8 dst src offset
    ds_write_b8 \dst \src \offset
.endm

.macro _ds_store_b8_d16_hi dst src offset
    ds_write_b8_d16_hi \dst \src \offset
.endm

.macro _ds_store_b16 dst src offset
    ds_write_b16 \dst \src \offset
.endm

.macro _ds_store_b16_d16_hi dst src offset
    ds_write_b16_d16_hi \dst \src \offset
.endm

.macro _ds_store_b32 dst src offset
    ds_write_b32 \dst \src \offset
.endm

.macro _ds_store_b64 dst src offset
    ds_write_b64 \dst \src \offset
.endm

.macro _ds_store_b128 dst src offset
    ds_write_b128 \dst \src \offset
.endm

.macro _ds_load2_b32 dst src offset1 offset2
    ds_read2_b32 \dst \src \offset1 \offset2
.endm

.macro _ds_load2_b64 dst src offset1 offset2
    ds_read2_b64 \dst \src \offset1 \offset2
.endm

.macro _ds_store2_b32 dst src offset1 offset2
    ds_write2_b32 \dst \src \offset1 \offset2
.endm

.macro _ds_store2_b64 dst src offset1 offset2
    ds_write2_b64 \dst \src \offset1 \offset2
.endm


/* buffer memory operation macros */
.macro _buffer_load_b32 dst voffset base soffset offen ioffset md0 md1 md2
    buffer_load_dword \dst \voffset \base \soffset \offen \ioffset \md0 \md1 \md2
.endm

.macro _buffer_load_b64 dst voffset base soffset offen ioffset md0 md1 md2
    buffer_load_dwordx2 \dst \voffset \base \soffset \offen \ioffset \md0 \md1 \md2
.endm

.macro _buffer_load_b96 dst voffset base soffset offen ioffset md0 md1 md2
    buffer_load_dwordx3 \dst \voffset \base \soffset \offen \ioffset \md0 \md1 \md2
.endm

.macro _buffer_load_b128 dst voffset base soffset offen ioffset md0 md1 md2
    buffer_load_dwordx4 \dst \voffset \base \soffset \offen \ioffset \md0 \md1 \md2
.endm

.macro _buffer_load_d16_b16 dst voffset base soffset offen ioffset md0 md1 md2
    buffer_load_short_d16 \dst \voffset \base \soffset \offen \ioffset \md0 \md1 \md2
.endm

.macro _buffer_load_d16_hi_b16 dst voffset base soffset offen ioffset md0 md1 md2
    buffer_load_short_d16_hi \dst \voffset \base \soffset \offen \ioffset \md0 \md1 \md2
.endm

.macro _buffer_load_d16_u8 dst voffset base soffset offen ioffset md0 md1 md2
    buffer_load_ubyte_d16 \dst \voffset \base \soffset \offen \ioffset \md0 \md1 \md2
.endm

.macro _buffer_load_d16_hi_u8 dst voffset base soffset offen ioffset md0 md1 md2
    buffer_load_ubyte_d16_hi \dst \voffset \base \soffset \offen \ioffset \md0 \md1 \md2
.endm

.macro _buffer_load_u16 dst voffset base soffset offen ioffset md0 md1 md2
    buffer_load_ushort \dst \voffset \base \soffset \offen \ioffset \md0 \md1 \md2
.endm

.macro _buffer_load_b32_dtl voffset base soffset offen ioffset md0 md1 md2
    buffer_load_dword \voffset \base \soffset \offen \ioffset \md0 \md1 \md2
.endm

.macro _buffer_load_b64_dtl voffset base soffset offen ioffset md0 md1 md2
    buffer_load_dwordx2 \voffset \base \soffset \offen \ioffset \md0 \md1 \md2
.endm

.macro _buffer_load_b128_dtl voffset base soffset offen ioffset md0 md1 md2
    buffer_load_dwordx4 \voffset \base \soffset \offen \ioffset \md0 \md1 \md2
.endm

.macro _buffer_load_u16_dtl voffset base soffset offen ioffset md0 md1 md2
    buffer_load_ushort \voffset \base \soffset \offen \ioffset \md0 \md1 \md2
.endm

.macro _buffer_store_b32 src voffset base soffset offen ioffset md0 md1 md2
    buffer_store_dword \src \voffset \base \soffset \offen \ioffset \md0 \md1 \md2
.endm

.macro _buffer_store_b64 src voffset base soffset offen ioffset md0 md1 md2
    buffer_store_dwordx2 \src \voffset \base \soffset \offen \ioffset \md0 \md1 \md2
.endm

.macro _buffer_store_b96 src voffset base soffset offen ioffset md0 md1 md2
    buffer_store_dwordx3 \src \voffset \base \soffset \offen \ioffset \md0 \md1 \md2
.endm

.macro _buffer_store_b128 src voffset base soffset offen ioffset md0 md1 md2
    buffer_store_dwordx4 \src \voffset \base \soffset \offen \ioffset \md0 \md1 \md2
.endm

.macro _buffer_store_b16 src voffset base soffset offen ioffset md0 md1 md2
    buffer_store_short \src \voffset \base \soffset \offen \ioffset \md0 \md1 \md2
.endm

.macro _buffer_store_d16_hi_b16 src voffset base soffset offen ioffset md0 md1 md2
    buffer_store_short_d16_hi \src \voffset \base \soffset \offen \ioffset \md0 \md1 \md2
.endm

.macro _buffer_store_b8 src voffset base soffset offen ioffset md0 md1 md2
    buffer_store_byte \src \voffset \base \soffset \offen \ioffset \md0 \md1 \md2
.endm

.macro _buffer_store_d16_hi_b8 src voffset base soffset offen ioffset md0 md1 md2
    buffer_store_byte_d16_hi \src \voffset \base \soffset \offen \ioffset \md0 \md1 \md2
.endm

.macro _buffer_atomic_cmpswap_b32 dst voffset base soffset offen ioffset md0 md1 md2
    buffer_atomic_cmpswap \dst \voffset \base \soffset \offen \ioffset \md0 \md1 \md2
.endm

.macro _buffer_atomic_cmpswap_b64 dst voffset base soffset offen ioffset md0 md1 md2
    buffer_atomic_cmpswap_x2 \dst \voffset \base \soffset \offen \ioffset \md0 \md1 \md2
.endm


/* buffer memory operation macros */
.macro _global_load_b32 dst base src ioffset md0 md1 md2
    global_load_dword \dst \base \src \ioffset \md0 \md1 \md2
.endm

.macro _global_load_b64 dst base src ioffset md0 md1 md2
    global_load_dwordx2 \dst \base \src \ioffset \md0 \md1 \md2
.endm

.macro _global_load_b96 dst base src ioffset md0 md1 md2
    global_load_dwordx3 \dst \base \src \ioffset \md0 \md1 \md2
.endm

.macro _global_load_b128 dst base src ioffset md0 md1 md2
    global_load_dwordx4 \dst \base \src \ioffset \md0 \md1 \md2
.endm

.macro _global_load_d16_b16 dst base src ioffset md0 md1 md2
    global_load_short_d16 \dst \base \src \ioffset \md0 \md1 \md2
.endm

.macro _global_load_d16_hi_b16 dst base src ioffset md0 md1 md2
    global_load_short_d16_hi \dst \base \src \ioffset \md0 \md1 \md2
.endm

.macro _global_load_d16_u8 dst base src ioffset md0 md1 md2
    global_load_ubyte_d16 \dst \base \src \ioffset \md0 \md1 \md2
.endm

.macro _global_load_d16_hi_u8 dst base src ioffset md0 md1 md2
    global_load_ubyte_d16_hi \dst \base \src \ioffset \md0 \md1 \md2
.endm

.macro _global_load_u16 dst base src ioffset md0 md1 md2
    global_load_ushort \dst \base \src \ioffset \md0 \md1 \md2
.endm

.macro _global_store_b32 base src src2 md0 md1 md2
    global_store_dword \base \src \src2 \md0 \md1 \md2
.endm

.macro _global_store_b64 base src src2 md0 md1 md2
    global_store_dwordx2 \base \src \src2 \md0 \md1 \md2
.endm

.macro _global_store_b96 base src src2 md0 md1 md2
    global_store_dwordx3 \base \src \src2 \md0 \md1 \md2
.endm

.macro _global_store_b128 base src src2 md0 md1 md2
    global_store_dwordx4 \base \src \src2 \md0 \md1 \md2
.endm

.macro _global_store_d16_b16 base src src2 md0 md1 md2
    global_store_short \base \src \src2 \md0 \md1 \md2
.endm

.macro _global_store_d16_hi_b16 base src src2 md0 md1 md2
    global_store_short_d16_hi \base \src \src2 \md0 \md1 \md2
.endm

.macro _global_store_d16_u8 base src src2 md0 md1 md2
    global_store_ubyte_d16 \base \src \src2 \md0 \md1 \md2
.endm

.macro _global_store_d16_hi_u8 base src src2 md0 md1 md2
    global_store_ubyte_d16_hi \base \src \src2 \md0 \md1 \md2
.endm

.macro _global_store_u16 base src src2 md0 md1 md2
    global_store_ushort \base \src \src2 \md0 \md1 \md2
.endm

.macro _global_atomic_cmpswap_b32 tmp base data src ioffset md
    global_atomic_cmpswap \tmp \base \data \src \ioffset \md
.endm

.macro _global_atomic_cmpswap_b64 tmp base data src ioffset md
    global_atomic_cmpswap_x2 \tmp \base \data \src \ioffset \md
.endm


/******************************************/
/* Magic div and mod functions            */
/******************************************/
.macro V_MAGIC_DIV dstIdx:req, dividend:req, magicNumber:req, magicShift:req, magicA:req
    v_mul_hi_u32 v[\dstIdx+1], \dividend, \magicNumber
    v_mul_lo_u32 v[\dstIdx+0], \dividend, \magicA
    _v_add_u32 v[\dstIdx+0], v[\dstIdx+0], v[\dstIdx+1]
    v_lshrrev_b32 v[\dstIdx+0], \magicShift, v[\dstIdx+0]
.endm

/******************************************/
/* VGPR Assignments                       */
/******************************************/
/* ValuC range: [0-0), serializedStore enabled */
.set vgprValuC, 0
/* ValuA/B   Xn=PLR buffer idx,  In=InnerUnroll idx */
.set vgprValuA_X0_I0, 0
.set vgprValuA_X0_I1, 4
.set vgprValuA_X1_I0, 8
.set vgprValuA_X1_I1, 12
.set vgprG2LA, 26
.set vgprValuB_X0_I0, 16
.set vgprValuB_X0_I1, 17
.set vgprValuB_X1_I0, 18
.set vgprValuB_X1_I1, 19
.set vgprG2LB, 34
.set vgprLocalWriteAddrA, 20
.set vgprLocalWriteAddrB, 21
.set vgprGlobalReadOffsetA, 22
.set vgprGlobalReadOffsetB, 24
.set vgprLocalReadAddrA, 42
.set vgprLocalReadAddrB, 43
.set vgprSerial, 44
/* Num VGPR=128 */
/* Num AccVGPR=16 */

/******************************************/
/* SGPR Assignments                       */
/******************************************/
.set sgprKernArgAddress, 0 // (2)
.set sgprWorkGroup0, 2 // (1)
.set sgprWorkGroup1, 3 // (1)
.set sgprWorkGroup2, 4 // (1)
.set sgprLoopCounterL, 5 // (1)
.set sgprOrigLoopCounter, 6 // (1)
.set sgprSrdA, 8 // (4)
.set sgprSrdB, 12 // (4)
.set sgprSrdD, 16 // (4)
.set sgprSrdC, 20 // (4)
.set sgprTensor2dSizeA, 24 // (2)
.set sgprTensor2dSizeB, 26 // (2)
.set sgprAddressD, 28 // (2)
.set sgprAddressC, 30 // (2)
.set sgprAddressA, 32 // (2)
.set sgprAddressB, 34 // (2)
.set sgprAlpha, 36 // (1)
.set sgprBeta, 37 // (1)
.set sgprStridesD, 38 // (2)
.set sgprStridesC, 40 // (2)
.set sgprStridesA, 42 // (2)
.set sgprStridesB, 44 // (2)
.set sgprSizesFree, 46 // (3)
.set sgprSizesSum, 49 // (1)
.set sgprOrigStaggerUIter, 50 // (1)
.set sgprNumWorkGroups0, 51 // (1)
.set sgprNumWorkGroups1, 52 // (1)
.set sgprShadowLimitA, 0 // (2)
.set sgprShadowLimitB, 28 // (2)
.set sgprStaggerUIter, 7 // (1)
.set sgprWrapUA, 30 // (2)
.set sgprWrapUB, 32 // (2)
.set sgprGlobalReadIncsA, 34 // (1)
.set sgprGlobalReadIncsB, 35 // (1)
/* max SGPR=60 */

/* Size Assignments */
.set sgprSizeI, sgprSizesFree+0
.set sgprSizeJ, sgprSizesFree+1
.set sgprSizeK, sgprSizesFree+2
.set sgprSizeL, sgprSizesSum+0

/* Stride Assignments */
.set constStrideD0I, 1
.set sgprStrideD1J, sgprStridesD+0
.set sgprStrideDK, sgprStridesD+1
.set constStrideC0I, 1
.set sgprStrideC1J, sgprStridesC+0
.set sgprStrideCK, sgprStridesC+1
.set constStrideA0I, 1
.set sgprStrideAL, sgprStridesA+0
.set sgprStrideAK, sgprStridesA+1
.set constStrideB1J, 1
.set sgprStrideBL, sgprStridesB+0
.set sgprStrideBK, sgprStridesB+1

.set MT0, 64
.set MT1, 64
.set DepthU, 32
.set GSU, 1
.set BpeA, 4
.set BpeALog2, 2
.set BpeB, 4
.set BpeBLog2, 2
/* Number of elements to shift-left SRD */
.set SrdShiftLeftA, 4
.set SrdShiftLeftB, 4
/* 2GB limit - set offsets to -1 to exceed this and clamp */
.set BufferLimitA, 0xffffffff
.set BufferLimitB, 0xffffffff
.set BufferOOB, 0xfffff000

/******************************************/
/* Bits 127:96 of SRD.                    */
/* hex: 0x00020000                        */
/* dst_sel_x (3b): 0                      */
/* dst_sel_y (3b): 0                      */
/* dst_sel_z (3b): 0                      */
/* dst_sel_w (3b): 0                      */
/* num_format (3b): 0                     */
/* data_format (4b): 4                    */
/* user_vm_enable (1b): 0                 */
/* user_vm_mode (1b): 0                   */
/* index_stride (2b): 0                   */
/* add_tid_enable (1b): 0                 */
/* _unusedA (3b): 0                       */
/* nv (1b): 0                             */
/* _unusedB (2b): 0                       */
/* type (2b): 0                           */
/******************************************/
.set Srd127_96, 0x00020000

/* Global Offset A */
.macro GLOBAL_OFFSET_A vgprAddr:req vgprOffset0I:req vgprOffsetL:req vgprTmp:req
v_mul_lo_u32 v[\vgprTmp+0], s[sgprStrideAL], v[\vgprOffsetL] // mul d1 lower
_v_add_co_u32 v[\vgprAddr+0], vcc, v[\vgprOffset0I], v[\vgprTmp+0] // accumulate K lower
_v_add_u32 v[\vgprAddr+0], 0x4, v[\vgprAddr+0]     // add prepad for pointer shift
v_lshlrev_b32 v[\vgprAddr+0], 0x2, v[\vgprAddr+0]  // offset *= bytes/element
.endm

/* Global Offset B */
.macro GLOBAL_OFFSET_B vgprAddr:req vgprOffset1J:req vgprOffsetL:req vgprTmp:req
v_mul_lo_u32 v[\vgprTmp+0], s[sgprStrideBL], v[\vgprOffsetL] // mul d1 lower
_v_add_co_u32 v[\vgprAddr+0], vcc, v[\vgprOffset1J], v[\vgprTmp+0] // accumulate K lower
_v_add_u32 v[\vgprAddr+0], 0x4, v[\vgprAddr+0]     // add prepad for pointer shift
v_lshlrev_b32 v[\vgprAddr+0], 0x2, v[\vgprAddr+0]  // offset *= bytes/element
.endm

/******************************************/
/* Dynamic Scalar Divide: vQuotient=vDividend/vDivisor; vRemainder=vDividend%vDivisor; */
/******************************************/
.macro DYNAMIC_VECTOR_DIVIDE vQuotient vRemainder vDividend vDivisor vTmp0 vTmp1 sTmp
v_cvt_f32_u32 v[\vQuotient], v[\vDivisor]          // 
v_rcp_f32 v[\vQuotient], v[\vQuotient]             // 
v_mul_f32 v[\vQuotient], 0x4f800000, v[\vQuotient] // 
v_cvt_u32_f32 v[\vQuotient], v[\vQuotient]         // 
v_mul_lo_u32 v[\vRemainder], v[\vDivisor], v[\vQuotient] // 
v_mul_hi_u32 v[\vTmp0], v[\vDivisor], v[\vQuotient] // 
_v_sub_co_u32 v[\vTmp1], vcc, 0x0, v[\vRemainder]  // 
v_cmp_ne_i32 s[\sTmp:\sTmp+1], 0x0, v[\vTmp0]      // 
v_cndmask_b32 v[\vRemainder], v[\vTmp1], v[\vRemainder], s[\sTmp:\sTmp+1] // 
v_mul_hi_u32 v[\vRemainder], v[\vRemainder], v[\vQuotient] // 
_v_sub_co_u32 v[\vTmp0], vcc, v[\vQuotient], v[\vRemainder] // 
_v_add_co_u32 v[\vQuotient], vcc, v[\vQuotient], v[\vRemainder] // 
v_cndmask_b32 v[\vQuotient], v[\vQuotient], v[\vTmp0], s[\sTmp:\sTmp+1] // 
v_mul_hi_u32 v[\vQuotient], v[\vQuotient], v[\vDividend] // 
v_mul_lo_u32 v[\vRemainder], v[\vQuotient], v[\vDivisor] // 
_v_sub_co_u32 v[\vTmp0], vcc, v[\vDividend], v[\vRemainder] // 
v_cmp_ge_u32 s[\sTmp:\sTmp+1], v[\vDividend], v[\vRemainder] // 
_v_add_co_u32 v[\vRemainder], vcc, 0x1, v[\vQuotient] // 
_v_add_co_u32 v[\vTmp1], vcc, -1, v[\vQuotient]    // 
v_cmp_le_u32 vcc, v[\vDivisor], v[\vTmp0]          // 
s_and_b64 vcc, s[\sTmp:\sTmp+1], vcc               // 
v_cndmask_b32 v[\vQuotient], v[\vQuotient], v[\vRemainder], vcc // 
v_cndmask_b32 v[\vQuotient], v[\vTmp1], v[\vQuotient], s[\sTmp:\sTmp+1] // 
v_cmp_ne_i32 vcc, 0x0, v[\vDivisor]                // 
v_cndmask_b32 v[\vQuotient], -1, v[\vQuotient], vcc // final result
v_mul_lo_u32 v[\vRemainder], v[\vQuotient], v[\vDivisor] // 
_v_sub_co_u32 v[\vRemainder], vcc, v[\vDividend], v[\vRemainder] // final result
.endm


	;; [unrolled: 1-line block ×3, first 2 shown]
/******************************************/
/* Allocate Resources                     */
/******************************************/

Cijk_Ailk_Bjlk_SB_MT64x64x32_MI16x16x4x1_SE_1LDSB0_APM1_AF0EM4_AF1EM1_AMAS0_ASE_ASAE01_ASCE01_ASEM1_BL1_DTLA0_DTLB0_DVO0_EPS1_FL1_GLVWA4_GLVWB4_GRVW4_GSU1_GSUASB_ISA908_IU2_K1_KLA_LBSPPA0_LBSPPB0_LPA0_LPB0_LDL1_LRVW1_LDW0_MAC_MDA2_MMFGLC_NTC0_NTD0_NEPBS0_NLCA1_NLCB1_ONLL1_OPLV0_PK0_PAP0_PGR1_PLR1_SIA3_SS0_SU32_SUM0_SUS256_SPO0_SRVW4_SSO0_SVW4_SNLL0_TT4_16_TLDS1_UMLDSA0_UMLDSB0_USFGROn1_VAW1_VSn1_VW1_VWB1_WSGRA0_WSGRB0_WG16_16_1_WGM1_preloaded: // Kernel start when preloading

/* Load Kernel Args */
_s_load_b512 s[24:39], s[sgprKernArgAddress:sgprKernArgAddress+1], 0x0 // 
_s_load_b256 s[40:47], s[sgprKernArgAddress:sgprKernArgAddress+1], 0x40 // 
_s_load_b128 s[48:51], s[sgprKernArgAddress:sgprKernArgAddress+1], 0x60 // 
_s_load_b32 s52, s[sgprKernArgAddress:sgprKernArgAddress+1], 0x70 // 
s_mov_b32 m0, 0x8000                               // LDS clamp at 32768 bytes
v_mov_b32 v[vgprSerial], v0                        // thread serial id

/******************************************/
/* Local Read Addresses                   */
/******************************************/


/* local read addresses: tile assignments a/b */

/*lr0I*/
v_and_b32 v1, 63, v[vgprSerial]                    // 0. thread id in wave: wtid = tid % wavelength(64)
v_and_b32 v0, 15, v1                               // 1. N offset: nIdx = wtid % MI_N(16)
                                                   // 1. N offset: nOffset = nIdx * nStride(1) (multiplier is 1, do nothing)
                                                   // 2. block offset: bnIdx = bnIdx % num1DBlocks(1) is 0. do nothing
                                                   // 4. apply VectorWidth: bnOffset = bnOffset * vw(1) (multiplier is 1, do nothing)
v_lshrrev_b32 v1, 4, v1                            // 5. K offset: kIdx = wtid / (MIN(16) * MIBB(1))
v_lshlrev_b32 v1, 0x6, v1                          // 5. K offset: lrKOffset = kIdx * mStride(64)
_v_add_u32 v0, v1, v0                              // 6. offset in wave: lrOffset = bnOffset + lrKOffset
/*lr1J*/
v_and_b32 v2, 63, v[vgprSerial]                    // 0. thread id in wave: wtid = tid % wavelength(64)
v_and_b32 v1, 15, v2                               // 1. N offset: nIdx = wtid % MI_N(16)
                                                   // 1. N offset: nOffset = nIdx * nStride(1) (multiplier is 1, do nothing)
                                                   // 2. block offset: bnIdx = bnIdx % num1DBlocks(1) is 0. do nothing
                                                   // 4. apply VectorWidth: bnOffset = bnOffset * vw(1) (multiplier is 1, do nothing)
v_lshrrev_b32 v2, 4, v2                            // 5. K offset: kIdx = wtid / (MIN(16) * MIBB(1))
v_lshlrev_b32 v2, 0x6, v2                          // 5. K offset: lrKOffset = kIdx * mStride(64)
_v_add_u32 v1, v2, v1                              // 6. offset in wave: lrOffset = bnOffset + lrKOffset
v_lshrrev_b32 v3, 6, v[vgprSerial]                 // 7. wave offset in N dimen: wtid = tid / dividedForWaveId(64)
v_and_b32 v2, 3, v3                                // 7. wave offset in M dimen: wtid0 = wtid / num1DWaves(4)
v_lshlrev_b32 v2, 0x4, v2                          // 7. wave offset in M dimen: wOffset = wtid0 * W0Stride(16)
_v_add_u32 v1, v2, v1                              // 8. final local read offset: flrOffset = lrOffset + WOffset


/* local read addresses: final offsets a */

v_lshlrev_b32 v[vgprLocalReadAddrA], 0x2, v0       // Final Offset: offset = (lro0)*bpe


/* local read addresses: final offsets b */

v_lshlrev_b32 v[vgprLocalReadAddrB], 0x2, v1       // Final Offset: offset = (lro1)*bpe


/* local read addresses: declare addresses a */

/* N/A */


/* local read addresses: declare addresses b */

_v_add_co_u32 v[vgprLocalReadAddrB+0], vcc, 0x2000, v[vgprLocalReadAddrB+0] //  += LdsOffsetB (lower)


/* global read addresses: tile offset assignment a */

/* LVCA = 16 */
/* v0 = (local)groA-tile = serial%LVCA (note (wgA*MTA) will be added to SRD) */
/* v1 = groA-unroll = serial/LVCA */
v_lshrrev_b32 v1, 4, v[vgprSerial]                 // v1 = v[vgprSerial] / 16
v_and_b32 v0, 15, v[vgprSerial]                    // v0 = v[vgprSerial] % 16
/* gro-tile *= glvw */
v_lshlrev_b32 v0, 0x2, v0                          // v0 = v0 * 4


/* global read addresses: tile offset assignment b */

/* LVCB = 16 */
/* v2 = (local)groB-tile = serial%LVCB (note (wgB*MTB) will be added to SRD) */
/* v3 = groB-unroll = serial/LVCB */
v_lshrrev_b32 v3, 4, v[vgprSerial]                 // v3 = v[vgprSerial] / 16
v_and_b32 v2, 15, v[vgprSerial]                    // v2 = v[vgprSerial] % 16
/* gro-tile *= glvw */
v_lshlrev_b32 v2, 0x2, v2                          // v2 = v2 * 4


/******************************************/
/* Local Write Addresses                  */
/******************************************/

/* lwaTileAssignmentA = v0 */

/* lwaTileAssignmentB = v2 */

/* lwaUnrollAssignmentA = v1 */

/* lwaUnrollAssignmentB = v3 */


/* local write addresses: first offset a */

v_mul_u32_u24 v[vgprLocalWriteAddrA], 0x40, v1     // lwAL**(MTA + PAD)
_v_add_lshl_u32 v[vgprLocalWriteAddrA], v0, v[vgprLocalWriteAddrA], 0x2 // lwFOA = (lwAA + lwAL*(MT0I+PAD))*bpe


/* local write addresses: first offset b */

v_mul_u32_u24 v[vgprLocalWriteAddrB], 0x40, v3     // lwBL**(MTB + PAD)
_v_add_lshl_u32 v[vgprLocalWriteAddrB], v2, v[vgprLocalWriteAddrB], 0x2 // lwFOB = (lwBB + lwBL*(MT1J+PAD))*bpe
_v_add_co_u32 v[vgprLocalWriteAddrB], vcc, 0x2000, v[vgprLocalWriteAddrB] // lwFOB = lwB1J + lwBL*MT1J + LDS_OFFSET_B=2048*4


	;; [unrolled: 1-line block ×7, first 2 shown]
s_waitcnt lgkmcnt(0)                               // wait for 116 bytes of kern args
s_mov_b64 s[sgprSrdC+0:sgprSrdC+0+1], s[sgprAddressC+0:sgprAddressC+0+1] // copy addressC
s_mov_b64 s[sgprSrdD+0:sgprSrdD+0+1], s[sgprAddressD+0:sgprAddressD+0+1] // copy addressD
s_sub_u32 s[sgprSrdA+0], s[sgprAddressA+0], 16     // pre-pad to make room for possible pointer shift
s_subb_u32 s[sgprSrdA+1], s[sgprAddressA+1], 0     // pre-pad to make room for possible pointer shift
s_sub_u32 s[sgprSrdB+0], s[sgprAddressB+0], 16     // pre-pad to make room for possible pointer shift
s_subb_u32 s[sgprSrdB+1], s[sgprAddressB+1], 0     // pre-pad to make room for possible pointer shift

.set AddressD, UNDEF
.set AddressC, UNDEF
.set AddressA, UNDEF
.set AddressB, UNDEF

/* Short circuit condition if Alpha == 0, then sumDims=0 */
v_cmp_eq_f32 vcc, s[sgprAlpha], 0.0                // Alpha == 0.0f ?
s_cbranch_vccz label_AlphaNonZero                  // branch if alpha != 0
s_mov_b32 s[sgprSizesSum+0], 0x0                   // Set summation dim=0 if Alpha == 0
label_AlphaNonZero:


	;; [unrolled: 1-line block ×3, first 2 shown]
/******************************************/
/* Begin setupNewTile, isPap=False           */
/******************************************/


/* global read addresses: work-group */

/* graWorkGroup mapping */


/* global read addresses: unroll assignment a */

/* v1 */


/* global read addresses: unroll assignment b */

/* v3 */


/* global read addresses: other free assignments */

/* s[sgprWorkGroup2] */


/* global read addresses: tile offsets a */

v_mov_b32 v4, v0                                   // groA0I_0


/* global read addresses: tile offsets b */

v_mov_b32 v5, v2                                   // groB1J_0


/* global read addresses: unroll offsets a */

v_mov_b32 v6, v1                                   // groAL_0
_v_add_co_u32 v7, vcc, 16, v6                      // groAL_1 + LSPA


/* global read addresses: unroll offsets b */

v_mov_b32 v8, v3                                   // groBL_0
_v_add_co_u32 v9, vcc, 16, v8                      // groBL_1 + LSPB


/* global read addresses: shift b */

s_mul_i32 s53, s[sgprWorkGroup1], 64               // WorkGroup[01] * MT
s_sub_u32 s53, s[sgprSizeJ], s53                   // edge = Size1J - WG*MT
s_sub_u32 s53, s53, 4                              // edge -= margin(4)
v_mov_b32 v10, s53                                 // edge vgpr = Size1J- WG*MT - margin(4)
v_min_i32 v5, v10, v5                              // offset = (offset < edge) ? offset(v5) : edge(v10)


/* global read addresses: final offsets a */

GLOBAL_OFFSET_A vgprGlobalReadOffsetA+0,  4,  6, 10 // gROA_0_0_0_0
GLOBAL_OFFSET_A vgprGlobalReadOffsetA+1,  4,  7, 10 // gROA_0_0_1_0


/* global read addresses: final offsets b */

GLOBAL_OFFSET_B vgprGlobalReadOffsetB+0,  5,  8, 10 // gROB_0_0_0_0
GLOBAL_OFFSET_B vgprGlobalReadOffsetB+1,  5,  9, 10 // gROB_0_0_1_0


/* global read addresses: addresses a */

/* max read offset = size[n] * stride[n-1] */
s_mul_hi_u32 s59, s[sgprWorkGroup0], 64            // WorkGroup[01] * MT
s_mul_i32 s58, s[sgprWorkGroup0], 64               // WorkGroup[01] * MT
s_sub_u32 s[sgprShadowLimitA+0], s[sgprTensor2dSizeA], s58 // sub tileStart
s_subb_u32 s[sgprShadowLimitA+1], s[sgprTensor2dSizeA+1], s59 // sub tileStart
s_lshl_b64 s[sgprShadowLimitA:sgprShadowLimitA+1], s[sgprShadowLimitA:sgprShadowLimitA+1], 0x2 // Set limit to use bytes
s_add_u32 s[sgprShadowLimitA+0], s[sgprShadowLimitA+0], 16 // extend limit for pre-pad
s_addc_u32 s[sgprShadowLimitA+1], s[sgprShadowLimitA+1], 0 // extend limit for pre-pad
s_cmp_eq_u32 s[sgprShadowLimitA+1], 0              // are we within 2^32?
s_cselect_b32 s[sgprSrdA+2], s[sgprShadowLimitA+0], BufferLimitA // Move shadow to real if we are within 2^32
s_mul_hi_u32 s57, s[sgprStrideAK], s[sgprWorkGroup2] // Stride*WG
s_mul_i32 s56, s[sgprStrideAK], s[sgprWorkGroup2]  // Stride*WG
s_add_u32 s58, s58, s56                            // accum wg term to tilestart
s_addc_u32 s59, s59, s57                           // accum wg term to tilestart
s_lshl_b64 s[58:59], s[58:59], 0x2                 // tileStart *= BPE
s_add_u32 s[sgprSrdA+0], s[sgprSrdA+0], s58        // SRD base = Address+ tileStart0
s_addc_u32 s[sgprSrdA+1], s[sgprSrdA+1], s59       // SRD base = Address+ tileStart1
s_mov_b32 s[sgprSrdA+3], Srd127_96                 // Set bits 127_96 in SRD


/* global read addresses: addresses b */

/* max read offset = size[n] * stride[n-1] */
s_mul_hi_u32 s59, s[sgprWorkGroup1], 64            // WorkGroup[01] * MT
s_mul_i32 s58, s[sgprWorkGroup1], 64               // WorkGroup[01] * MT
s_sub_u32 s[sgprShadowLimitB+0], s[sgprTensor2dSizeB], s58 // sub tileStart
s_subb_u32 s[sgprShadowLimitB+1], s[sgprTensor2dSizeB+1], s59 // sub tileStart
s_lshl_b64 s[sgprShadowLimitB:sgprShadowLimitB+1], s[sgprShadowLimitB:sgprShadowLimitB+1], 0x2 // Set limit to use bytes
s_add_u32 s[sgprShadowLimitB+0], s[sgprShadowLimitB+0], 16 // extend limit for pre-pad
s_addc_u32 s[sgprShadowLimitB+1], s[sgprShadowLimitB+1], 0 // extend limit for pre-pad
s_cmp_eq_u32 s[sgprShadowLimitB+1], 0              // are we within 2^32?
s_cselect_b32 s[sgprSrdB+2], s[sgprShadowLimitB+0], BufferLimitB // Move shadow to real if we are within 2^32
s_mul_hi_u32 s57, s[sgprStrideBK], s[sgprWorkGroup2] // Stride*WG
s_mul_i32 s56, s[sgprStrideBK], s[sgprWorkGroup2]  // Stride*WG
s_add_u32 s58, s58, s56                            // accum wg term to tilestart
s_addc_u32 s59, s59, s57                           // accum wg term to tilestart
s_lshl_b64 s[58:59], s[58:59], 0x2                 // tileStart *= BPE
s_add_u32 s[sgprSrdB+0], s[sgprSrdB+0], s58        // SRD base = Address+ tileStart0
s_addc_u32 s[sgprSrdB+1], s[sgprSrdB+1], s59       // SRD base = Address+ tileStart1
s_mov_b32 s[sgprSrdB+3], Srd127_96                 // Set bits 127_96 in SRD


/* global read addresses: increments a */

s_mul_i32 s[sgprGlobalReadIncsA+0], DepthU*BpeA, s[sgprStrideAL] // incrA unrollIdx)


/* global read addresses: increments b */

s_mul_i32 s[sgprGlobalReadIncsB+0], DepthU*BpeB, s[sgprStrideBL] // incrB unrollIdx)

/* declare loop num iterations */


s_lshr_b32 s[sgprLoopCounterL], s[sgprSizesSum+0], 5 // s[sgprLoopCounterL] = s[sgprSizesSum+0] / 32
s_mov_b32 s[sgprOrigLoopCounter], s[sgprLoopCounterL] // copy loop counter

s_and_b32 s[sgprStaggerUIter], s[sgprOrigStaggerUIter], s[sgprWorkGroup0] // Compute actual stagger start for this tile
s_lshl_b32 s[sgprStaggerUIter], s[sgprStaggerUIter], 1 // shift by StaggerUStride


/* SRDs += (StaggerUIter) * GlobalReadIncsA+0 */
s_mul_hi_u32 s57, s[sgprStaggerUIter], s[sgprGlobalReadIncsA+0] //  stagger byte offset
s_mul_i32 s56, s[sgprStaggerUIter], s[sgprGlobalReadIncsA+0] //  stagger byte offset
s_mul_hi_u32 s[sgprWrapUA+1], s[sgprLoopCounterL], s[sgprGlobalReadIncsA+0] // Number of bytes accessed by the unroll loop
s_mul_i32 s[sgprWrapUA+0], s[sgprLoopCounterL], s[sgprGlobalReadIncsA+0] // Number of bytes accessed by the unroll loop
s_sub_u32 s[sgprWrapUA+0], s[sgprGlobalReadIncsA+0], s[sgprWrapUA+0] // remove one iteration
s_subb_u32 s[sgprWrapUA+1], 0, s[sgprWrapUA+1]     // remove one iteration
s_add_u32 s[sgprSrdA+0], s[sgprSrdA+0], s56        // gra SRD += inc(lower)
s_addc_u32  s[sgprSrdA+1], s[sgprSrdA+1], s57      // gra SRD += inc(upper)
s_sub_u32 s[sgprShadowLimitA+0], s[sgprShadowLimitA+0], s56 // limit -= inc)
s_subb_u32 s[sgprShadowLimitA+1], s[sgprShadowLimitA+1], s57 // limit -= inc)
s_cmp_eq_u32 s[sgprShadowLimitA+1], 0              // are we within 2^32?
s_cselect_b32 s[sgprSrdA+2], s[sgprShadowLimitA+0], BufferLimitA // Move shadow to real if we are within 2^32


/* SRDs += (StaggerUIter) * GlobalReadIncsB+0 */
s_mul_hi_u32 s57, s[sgprStaggerUIter], s[sgprGlobalReadIncsB+0] //  stagger byte offset
s_mul_i32 s56, s[sgprStaggerUIter], s[sgprGlobalReadIncsB+0] //  stagger byte offset
s_mul_hi_u32 s[sgprWrapUB+1], s[sgprLoopCounterL], s[sgprGlobalReadIncsB+0] // Number of bytes accessed by the unroll loop
s_mul_i32 s[sgprWrapUB+0], s[sgprLoopCounterL], s[sgprGlobalReadIncsB+0] // Number of bytes accessed by the unroll loop
s_sub_u32 s[sgprWrapUB+0], s[sgprGlobalReadIncsB+0], s[sgprWrapUB+0] // remove one iteration
s_subb_u32 s[sgprWrapUB+1], 0, s[sgprWrapUB+1]     // remove one iteration
s_add_u32 s[sgprSrdB+0], s[sgprSrdB+0], s56        // gra SRD += inc(lower)
s_addc_u32  s[sgprSrdB+1], s[sgprSrdB+1], s57      // gra SRD += inc(upper)
s_sub_u32 s[sgprShadowLimitB+0], s[sgprShadowLimitB+0], s56 // limit -= inc)
s_subb_u32 s[sgprShadowLimitB+1], s[sgprShadowLimitB+1], s57 // limit -= inc)
s_cmp_eq_u32 s[sgprShadowLimitB+1], 0              // are we within 2^32?
s_cselect_b32 s[sgprSrdB+2], s[sgprShadowLimitB+0], BufferLimitB // Move shadow to real if we are within 2^32
s_add_u32 s[sgprStaggerUIter], s[sgprStaggerUIter], 2 // Subtract (PGR-1); StaggerUIter now contains target iteration to wrap

/* local read addresses: init pointers a */


/* localReadInitPointers */

/* local read addresses: init pointers b */


/* localReadInitPointers */


/* prefetch: global -> local */

s_cmp_eq_u32 s[sgprLoopCounterL], 0                // at last iteration?
s_cbranch_scc1 ShadowInitStart_10                  // skip to ShadowInitStart iter b/c numIter==0


_buffer_load_b128 v[vgprG2LA+0:vgprG2LA+0+3], v[vgprGlobalReadOffsetA+0], s[sgprSrdA:sgprSrdA+3], 0, offen offset:0 // G -> Reg 0_0_0_0
_buffer_load_b128 v[vgprG2LA+4:vgprG2LA+4+3], v[vgprGlobalReadOffsetA+1], s[sgprSrdA:sgprSrdA+3], 0, offen offset:0 // G -> Reg 0_0_1_0


_buffer_load_b128 v[vgprG2LB+0:vgprG2LB+0+3], v[vgprGlobalReadOffsetB+0], s[sgprSrdB:sgprSrdB+3], 0, offen offset:0 // G -> Reg 0_0_0_0
_buffer_load_b128 v[vgprG2LB+4:vgprG2LB+4+3], v[vgprGlobalReadOffsetB+1], s[sgprSrdB:sgprSrdB+3], 0, offen offset:0 // G -> Reg 0_0_1_0


/* global read inc A loopL */
s_add_u32 s58, s[sgprLoopCounterL], 1              // remove pf(1)
s_cmp_eq_u32 s[sgprStaggerUIter], s58              // Is this wrapIter? (pf)
s_cselect_b32 s56, s[sgprWrapUA+0], s[sgprGlobalReadIncsA+0] // incLower <- ?
s_cselect_b32 s57, s[sgprWrapUA+1], 0              // incUpper <- ?
s_add_u32 s[sgprSrdA+0], s[sgprSrdA+0], s56        // gra SRD += inc(lower)
s_addc_u32  s[sgprSrdA+1], s[sgprSrdA+1], s57      // gra SRD += inc(upper)
s_sub_u32 s[sgprShadowLimitA+0], s[sgprShadowLimitA+0], s56 // limit -= inc)
s_subb_u32 s[sgprShadowLimitA+1], s[sgprShadowLimitA+1], s57 // limit -= inc)
s_cmp_eq_u32 s[sgprShadowLimitA+1], 0              // are we within 2^32?
s_cselect_b32 s[sgprSrdA+2], s[sgprShadowLimitA+0], BufferLimitA // Move shadow to real if we are within 2^32

/* global read inc B loopL */
s_add_u32 s58, s[sgprLoopCounterL], 1              // remove pf(1)
s_cmp_eq_u32 s[sgprStaggerUIter], s58              // Is this wrapIter? (pf)
s_cselect_b32 s56, s[sgprWrapUB+0], s[sgprGlobalReadIncsB+0] // incLower <- ?
s_cselect_b32 s57, s[sgprWrapUB+1], 0              // incUpper <- ?
s_add_u32 s[sgprSrdB+0], s[sgprSrdB+0], s56        // gra SRD += inc(lower)
s_addc_u32  s[sgprSrdB+1], s[sgprSrdB+1], s57      // gra SRD += inc(upper)
s_sub_u32 s[sgprShadowLimitB+0], s[sgprShadowLimitB+0], s56 // limit -= inc)
s_subb_u32 s[sgprShadowLimitB+1], s[sgprShadowLimitB+1], s57 // limit -= inc)
s_cmp_eq_u32 s[sgprShadowLimitB+1], 0              // are we within 2^32?
s_cselect_b32 s[sgprSrdB+2], s[sgprShadowLimitB+0], BufferLimitB // Move shadow to real if we are within 2^32


/******************************************/
/* End setupNewTile, isPap=False             */
/******************************************/

ShadowInitStart_10: // 

s_mov_b32 s[sgprSrdD+2], BufferOOB                 // 
s_mov_b32 s[sgprSrdD+3], Srd127_96                 // Set bits 127_96 in post-loop SRD

s_mov_b32 s[sgprSrdC+2], BufferOOB                 // 
s_mov_b32 s[sgprSrdC+3], Srd127_96                 // Set bits 127_96 in post-loop SRD


s_mul_i32 s56, MT1, s[sgprWorkGroup1]              // <- wg1*MT1
s_mul_hi_u32 s55, s56, s[sgprStrideC1J]            // CScale s56 by Stride
s_mul_i32 s54, s56, s[sgprStrideC1J]               // CScale s56 by Stride
s_lshl_b64 s[54:55], s[54:55], 2                   // scale by bpe
s_add_u32 s[sgprSrdC+0], s[sgprSrdC+0], s54        // add lo to SRD
s_addc_u32 s[sgprSrdC+1], s[sgprSrdC+1], s55       // add hi to SRD
s_mul_hi_u32 s55, s56, s[sgprStrideD1J]            // Scale s56 by Stride
s_mul_i32 s54, s56, s[sgprStrideD1J]               // Scale s56 by Stride
s_lshl_b64 s[54:55], s[54:55], 2                   // scale by bpe
s_add_u32 s[sgprSrdD+0], s[sgprSrdD+0], s54        // add lo to SRD
s_addc_u32 s[sgprSrdD+1], s[sgprSrdD+1], s55       // add hi to SRD

s_mul_hi_u32 s55, s[sgprWorkGroup2], s[sgprStrideCK] // CScale s[sgprWorkGroup2] by Stride
s_mul_i32 s54, s[sgprWorkGroup2], s[sgprStrideCK]  // CScale s[sgprWorkGroup2] by Stride
s_lshl_b64 s[54:55], s[54:55], 2                   // scale by bpe
s_add_u32 s[sgprSrdC+0], s[sgprSrdC+0], s54        // add lo to SRD
s_addc_u32 s[sgprSrdC+1], s[sgprSrdC+1], s55       // add hi to SRD
s_mul_hi_u32 s55, s[sgprWorkGroup2], s[sgprStrideDK] // Scale s[sgprWorkGroup2] by Stride
s_mul_i32 s54, s[sgprWorkGroup2], s[sgprStrideDK]  // Scale s[sgprWorkGroup2] by Stride
s_lshl_b64 s[54:55], s[54:55], 2                   // scale by bpe
s_add_u32 s[sgprSrdD+0], s[sgprSrdD+0], s54        // add lo to SRD
s_addc_u32 s[sgprSrdD+1], s[sgprSrdD+1], s55       // add hi to SRD


	;; [unrolled: 1-line block ×3, first 2 shown]
/* initC: remove C-tile 0-0 from pool */

/* initC: remove AB-tile 0-20 from pool */
v_accvgpr_write acc0, 0x0                          // initC
v_accvgpr_write acc1, 0x0                          // initC
v_accvgpr_write acc2, 0x0                          // initC
v_accvgpr_write acc3, 0x0                          // initC
v_accvgpr_write acc4, 0x0                          // initC
v_accvgpr_write acc5, 0x0                          // initC
v_accvgpr_write acc6, 0x0                          // initC
v_accvgpr_write acc7, 0x0                          // initC
v_accvgpr_write acc8, 0x0                          // initC
v_accvgpr_write acc9, 0x0                          // initC
v_accvgpr_write acc10, 0x0                         // initC
v_accvgpr_write acc11, 0x0                         // initC
v_accvgpr_write acc12, 0x0                         // initC
v_accvgpr_write acc13, 0x0                         // initC
v_accvgpr_write acc14, 0x0                         // initC
v_accvgpr_write acc15, 0x0                         // initC

s_cmp_eq_u32 s[sgprLoopCounterL], 0                // at last iteration?

/* after InitC, skip to end of prefetch last iter if numIter==0 */
s_cbranch_scc0 label_NoBranch_11                   // Only branch on scc1
s_getpc_B64 s[54:55]                               // addr of next instr
s_add_i32 s56, PrefetchGlobalLastIterEnd_5, 0x4    // target branch offset
s_add_u32 s54, s54, s56                            // add target branch offset
s_addc_u32 s55, s55, 0                             // add high and carry
s_setpc_b64 s[54:55]                               // branch to PrefetchGlobalLastIterEnd_5
label_NoBranch_11:

s_waitcnt vmcnt(0)                                 // lgkmcnt=-1 vmcnt=0 8wait for global read


/* local write a */
_ds_store_b128 v[vgprLocalWriteAddrA], v[vgprG2LA+0:vgprG2LA+0+3] offset:0 // lwoA_0_0_0_0 = (0*LSCA) + (0*LSPA)(*MT0I+PAD) = 0
_ds_store_b128 v[vgprLocalWriteAddrA], v[vgprG2LA+4:vgprG2LA+4+3] offset:4096 // lwoA_0_0_1_0 = (0*LSCA) + (1*LSPA)(*MT0I+PAD) = 4096

/* local write b */
_ds_store_b128 v[vgprLocalWriteAddrB], v[vgprG2LB+0:vgprG2LB+0+3] offset:0 // lwoB_0_0_0_0 = (0*LSCB) + (0*LSPB)(*MT1J+PAD) = 0
_ds_store_b128 v[vgprLocalWriteAddrB], v[vgprG2LB+4:vgprG2LB+4+3] offset:4096 // lwoB_0_0_1_0 = (0*LSCB) + (1*LSPB)(*MT1J+PAD) = 4096


/* local write swap a */


/* (EPS=1) local write swap internal offset -> 16384 */


/* local write swap b */


/* (EPS=1) local write swap internal offset -> 16384 */


	;; [unrolled: 1-line block ×3, first 2 shown]
s_waitcnt lgkmcnt(0)                               // lgkmcnt=0 vmcnt=-10prefetch wait for local write

s_waitcnt lgkmcnt(0) & vmcnt(0)                    // force waitcnt0
s_barrier //


/* local read prefetch a */

_ds_load_b32 v[vgprValuA_X0_I0+0], v[vgprLocalReadAddrA] offset:0 // L -> Reg lro=0 swapByteOffset=0 ti=16 vIdx=0 rIdx=0 oIdx=0 buffer=0 iui=0
_ds_load_b32 v[vgprValuA_X0_I0+1], v[vgprLocalReadAddrA] offset:64 // L -> Reg lro=0 swapByteOffset=0 ti=16 vIdx=1 rIdx=0 oIdx=0 buffer=0 iui=0
	;; [unrolled: 1-line block ×4, first 2 shown]


/* local read prefetch b */

_ds_load_b32 v[vgprValuB_X0_I0+0], v[vgprLocalReadAddrB] offset:0 // L -> Reg lro=0 swapByteOffset=0 ti=64 vIdx=0 rIdx=0 oIdx=0 buffer=0 iui=0


/* local read inc a */

/* N/A, lro->256 */
/* self.localReadDoCntA 1 self.localReadDoCntB 1 */


/* local read inc b */

/* N/A, lro->256 */
/* self.localReadDoCntA 1 self.localReadDoCntB 1 */


/* local read prefetch a */

_ds_load_b32 v[vgprValuA_X0_I1+0], v[vgprLocalReadAddrA] offset:1024 // L -> Reg lro=256 swapByteOffset=0 ti=16 vIdx=0 rIdx=0 oIdx=0 buffer=0 iui=1
_ds_load_b32 v[vgprValuA_X0_I1+1], v[vgprLocalReadAddrA] offset:1088 // L -> Reg lro=256 swapByteOffset=0 ti=16 vIdx=1 rIdx=0 oIdx=0 buffer=0 iui=1
	;; [unrolled: 1-line block ×4, first 2 shown]


/* local read prefetch b */

_ds_load_b32 v[vgprValuB_X0_I1+0], v[vgprLocalReadAddrB] offset:1024 // L -> Reg lro=256 swapByteOffset=0 ti=64 vIdx=0 rIdx=0 oIdx=0 buffer=0 iui=1


/* local read inc a */

/* N/A, lro->512 */
/* self.localReadDoCntA 2 self.localReadDoCntB 2 */


/* local read inc b */

/* N/A, lro->512 */
/* self.localReadDoCntA 2 self.localReadDoCntB 2 */


	;; [unrolled: 1-line block ×3, first 2 shown]
/******************************************/
/* Unrolled Loop(s) - Begin               */
/******************************************/

openLoopL_12:
s_cmp_le_u32 s[sgprLoopCounterL], 0x1              // LoopCounterL < EndCounter
s_cbranch_scc1 LoopEndL_2                          // do not enter LoopL
LoopBeginL_1:


/******************************************/
/* Unrolled Loop 1/2 - Begin              */
/******************************************/

label_0013: // LoopCopy1 


/* Begin Each Unroll: Check VGPR.checkin for INT8 LW */


	;; [unrolled: 1-line block ×3, first 2 shown]
/* iter 0 */

/*  grEndMfmaIndex:3, lwStartMfmaIndex:19, lwEndMfmaIndex:22  */
/*  numMfmaForLR:6, barrierMfmaIndex:25 */
/*  mfmaIndex:0  */
_buffer_load_b128 v[vgprG2LA+0:vgprG2LA+0+3], v[vgprGlobalReadOffsetA+0], s[sgprSrdA:sgprSrdA+3], 0, offen offset:0 // G -> Reg 0_0_0_0
s_waitcnt lgkmcnt(0)                               // lgkmcnt=0 vmcnt=-1wait for prior local read local write old=0, new=0 newLW=0 newLR=0
v_mfma_f32_16x16x4f32 a[0+0:3+0], v[vgprValuA_X0_I0+0+0+0], v[vgprValuB_X0_I0+0+0+0], a[0:3]
/*  mfmaIndex:1  */
_ds_load_b32 v[vgprValuA_X1_I0+0], v[vgprLocalReadAddrA] offset:2048 // L -> Reg lro=512 swapByteOffset=0 ti=16 vIdx=0 rIdx=0 oIdx=0 buffer=1 iui=0
_ds_load_b32 v[vgprValuB_X1_I0+0], v[vgprLocalReadAddrB] offset:2048 // L -> Reg lro=512 swapByteOffset=0 ti=64 vIdx=0 rIdx=0 oIdx=0 buffer=1 iui=0
_buffer_load_b128 v[vgprG2LA+4:vgprG2LA+4+3], v[vgprGlobalReadOffsetA+1], s[sgprSrdA:sgprSrdA+3], 0, offen offset:0 // G -> Reg 0_0_1_0
v_mfma_f32_16x16x4f32 a[4+0:7+0], v[vgprValuA_X0_I0+1+0+0], v[vgprValuB_X0_I0+0+0+0], a[4:7]
/*  mfmaIndex:2  */
_ds_load_b32 v[vgprValuA_X1_I0+1], v[vgprLocalReadAddrA] offset:2112 // L -> Reg lro=512 swapByteOffset=0 ti=16 vIdx=1 rIdx=0 oIdx=0 buffer=1 iui=0
_ds_load_b32 v[vgprValuA_X1_I0+2], v[vgprLocalReadAddrA] offset:2176 // L -> Reg lro=512 swapByteOffset=0 ti=16 vIdx=2 rIdx=0 oIdx=0 buffer=1 iui=0
_buffer_load_b128 v[vgprG2LB+0:vgprG2LB+0+3], v[vgprGlobalReadOffsetB+0], s[sgprSrdB:sgprSrdB+3], 0, offen offset:0 // G -> Reg 0_0_0_0
v_mfma_f32_16x16x4f32 a[8+0:11+0], v[vgprValuA_X0_I0+2+0+0], v[vgprValuB_X0_I0+0+0+0], a[8:11]
/*  mfmaIndex:3  */
_ds_load_b32 v[vgprValuA_X1_I0+3], v[vgprLocalReadAddrA] offset:2240 // L -> Reg lro=512 swapByteOffset=0 ti=16 vIdx=3 rIdx=0 oIdx=0 buffer=1 iui=0
_ds_load_b32 v[vgprValuA_X1_I1+0], v[vgprLocalReadAddrA] offset:3072 // L -> Reg lro=768 swapByteOffset=0 ti=16 vIdx=0 rIdx=0 oIdx=0 buffer=1 iui=1
_buffer_load_b128 v[vgprG2LB+4:vgprG2LB+4+3], v[vgprGlobalReadOffsetB+1], s[sgprSrdB:sgprSrdB+3], 0, offen offset:0 // G -> Reg 0_0_1_0
v_mfma_f32_16x16x4f32 a[12+0:15+0], v[vgprValuA_X0_I0+3+0+0], v[vgprValuB_X0_I0+0+0+0], a[12:15]
/*  mfmaIndex:4  */
_ds_load_b32 v[vgprValuB_X1_I1+0], v[vgprLocalReadAddrB] offset:3072 // L -> Reg lro=768 swapByteOffset=0 ti=64 vIdx=0 rIdx=0 oIdx=0 buffer=1 iui=1
_ds_load_b32 v[vgprValuA_X1_I1+1], v[vgprLocalReadAddrA] offset:3136 // L -> Reg lro=768 swapByteOffset=0 ti=16 vIdx=1 rIdx=0 oIdx=0 buffer=1 iui=1

/* global read inc A loopL */
s_cmp_eq_u32 s[sgprLoopCounterL], s[sgprStaggerUIter] // Is this the wrapIter?
s_cselect_b32 s54, s[sgprWrapUA+0], s[sgprGlobalReadIncsA+0] // incLower <- ?
s_cselect_b32 s55, s[sgprWrapUA+1], 0              // incUpper <- ?
v_mfma_f32_16x16x4f32 a[0+0:3+0], v[vgprValuA_X0_I1+0+0+0], v[vgprValuB_X0_I1+0+0+0], a[0:3]
/*  mfmaIndex:5  */
_ds_load_b32 v[vgprValuA_X1_I1+2], v[vgprLocalReadAddrA] offset:3200 // L -> Reg lro=768 swapByteOffset=0 ti=16 vIdx=2 rIdx=0 oIdx=0 buffer=1 iui=1
_ds_load_b32 v[vgprValuA_X1_I1+3], v[vgprLocalReadAddrA] offset:3264 // L -> Reg lro=768 swapByteOffset=0 ti=16 vIdx=3 rIdx=0 oIdx=0 buffer=1 iui=1
/* localReadsVacancy: latencyLeft 1 */
s_add_u32 s[sgprSrdA+0], s[sgprSrdA+0], s54        // gra SRD += inc(lower)
s_addc_u32  s[sgprSrdA+1], s[sgprSrdA+1], s55      // gra SRD += inc(upper)
s_sub_u32 s[sgprShadowLimitA+0], s[sgprShadowLimitA+0], s54 // limit -= inc)
v_mfma_f32_16x16x4f32 a[4+0:7+0], v[vgprValuA_X0_I1+1+0+0], v[vgprValuB_X0_I1+0+0+0], a[4:7]
/*  mfmaIndex:6  */
/* localReadsVacancy: latencyLeft 5 */
s_subb_u32 s[sgprShadowLimitA+1], s[sgprShadowLimitA+1], s55 // limit -= inc)
s_cmp_eq_u32 s[sgprShadowLimitA+1], 0              // are we within 2^32?
s_cselect_b32 s[sgprSrdA+2], s[sgprShadowLimitA+0], BufferLimitA // Move shadow to real if we are within 2^32
v_mfma_f32_16x16x4f32 a[8+0:11+0], v[vgprValuA_X0_I1+2+0+0], v[vgprValuB_X0_I1+0+0+0], a[8:11]
/*  mfmaIndex:7  */
/* localReadsVacancy: latencyLeft 5 */

/* global read inc B loopL */
s_cmp_eq_u32 s[sgprLoopCounterL], s[sgprStaggerUIter] // Is this the wrapIter?
s_cselect_b32 s54, s[sgprWrapUB+0], s[sgprGlobalReadIncsB+0] // incLower <- ?
s_cselect_b32 s55, s[sgprWrapUB+1], 0              // incUpper <- ?
v_mfma_f32_16x16x4f32 a[12+0:15+0], v[vgprValuA_X0_I1+3+0+0], v[vgprValuB_X0_I1+0+0+0], a[12:15]
/* numPrefetchIter=0 */
/* dataAtIterA=-1 numReadsIterA=1 skipReadsIterA=1 readsPerIterA=8 */
/* dataAtIterB=-1 numReadsIterB=1 skipReadsIterB=1 readsPerIterB=2 */


/* iter 1 */

/*  grEndMfmaIndex:3, lwStartMfmaIndex:19, lwEndMfmaIndex:22  */
/*  numMfmaForLR:6, barrierMfmaIndex:25 */
/*  mfmaIndex:8  */
_ds_load_b32 v[vgprValuA_X0_I0+0], v[vgprLocalReadAddrA] offset:4096 // L -> Reg lro=1024 swapByteOffset=0 ti=16 vIdx=0 rIdx=0 oIdx=0 buffer=0 iui=0
_ds_load_b32 v[vgprValuB_X0_I0+0], v[vgprLocalReadAddrB] offset:4096 // L -> Reg lro=1024 swapByteOffset=0 ti=64 vIdx=0 rIdx=0 oIdx=0 buffer=0 iui=0
s_add_u32 s[sgprSrdB+0], s[sgprSrdB+0], s54        // gra SRD += inc(lower)
s_addc_u32  s[sgprSrdB+1], s[sgprSrdB+1], s55      // gra SRD += inc(upper)
s_sub_u32 s[sgprShadowLimitB+0], s[sgprShadowLimitB+0], s54 // limit -= inc)
s_waitcnt lgkmcnt(2)                               // lgkmcnt=0 vmcnt=-1wait for prior local read local write old=0, new=2 newLW=0 newLR=2
v_mfma_f32_16x16x4f32 a[0+0:3+0], v[vgprValuA_X1_I0+0+0+0], v[vgprValuB_X1_I0+0+0+0], a[0:3]
/*  mfmaIndex:9  */
_ds_load_b32 v[vgprValuA_X0_I0+1], v[vgprLocalReadAddrA] offset:4160 // L -> Reg lro=1024 swapByteOffset=0 ti=16 vIdx=1 rIdx=0 oIdx=0 buffer=0 iui=0
_ds_load_b32 v[vgprValuA_X0_I0+2], v[vgprLocalReadAddrA] offset:4224 // L -> Reg lro=1024 swapByteOffset=0 ti=16 vIdx=2 rIdx=0 oIdx=0 buffer=0 iui=0
s_subb_u32 s[sgprShadowLimitB+1], s[sgprShadowLimitB+1], s55 // limit -= inc)
s_cmp_eq_u32 s[sgprShadowLimitB+1], 0              // are we within 2^32?
s_cselect_b32 s[sgprSrdB+2], s[sgprShadowLimitB+0], BufferLimitB // Move shadow to real if we are within 2^32
v_mfma_f32_16x16x4f32 a[4+0:7+0], v[vgprValuA_X1_I0+1+0+0], v[vgprValuB_X1_I0+0+0+0], a[4:7]
/*  mfmaIndex:10  */
_ds_load_b32 v[vgprValuA_X0_I0+3], v[vgprLocalReadAddrA] offset:4288 // L -> Reg lro=1024 swapByteOffset=0 ti=16 vIdx=3 rIdx=0 oIdx=0 buffer=0 iui=0
_ds_load_b32 v[vgprValuA_X0_I1+0], v[vgprLocalReadAddrA] offset:5120 // L -> Reg lro=1280 swapByteOffset=0 ti=16 vIdx=0 rIdx=0 oIdx=0 buffer=0 iui=1
v_mfma_f32_16x16x4f32 a[8+0:11+0], v[vgprValuA_X1_I0+2+0+0], v[vgprValuB_X1_I0+0+0+0], a[8:11]
/*  mfmaIndex:11  */
_ds_load_b32 v[vgprValuB_X0_I1+0], v[vgprLocalReadAddrB] offset:5120 // L -> Reg lro=1280 swapByteOffset=0 ti=64 vIdx=0 rIdx=0 oIdx=0 buffer=0 iui=1
_ds_load_b32 v[vgprValuA_X0_I1+1], v[vgprLocalReadAddrA] offset:5184 // L -> Reg lro=1280 swapByteOffset=0 ti=16 vIdx=1 rIdx=0 oIdx=0 buffer=0 iui=1
v_mfma_f32_16x16x4f32 a[12+0:15+0], v[vgprValuA_X1_I0+3+0+0], v[vgprValuB_X1_I0+0+0+0], a[12:15]
/*  mfmaIndex:12  */
_ds_load_b32 v[vgprValuA_X0_I1+2], v[vgprLocalReadAddrA] offset:5248 // L -> Reg lro=1280 swapByteOffset=0 ti=16 vIdx=2 rIdx=0 oIdx=0 buffer=0 iui=1
_ds_load_b32 v[vgprValuA_X0_I1+3], v[vgprLocalReadAddrA] offset:5312 // L -> Reg lro=1280 swapByteOffset=0 ti=16 vIdx=3 rIdx=0 oIdx=0 buffer=0 iui=1
/* localReadsVacancy: latencyLeft 1 */
v_mfma_f32_16x16x4f32 a[0+0:3+0], v[vgprValuA_X1_I1+0+0+0], v[vgprValuB_X1_I1+0+0+0], a[0:3]
/*  mfmaIndex:13  */
/* localReadsVacancy: latencyLeft 5 */
v_mfma_f32_16x16x4f32 a[4+0:7+0], v[vgprValuA_X1_I1+1+0+0], v[vgprValuB_X1_I1+0+0+0], a[4:7]
/*  mfmaIndex:14  */
	;; [unrolled: 3-line block ×3, first 2 shown]
/* localReadsVacancy: latencyLeft 5 */
v_mfma_f32_16x16x4f32 a[12+0:15+0], v[vgprValuA_X1_I1+3+0+0], v[vgprValuB_X1_I1+0+0+0], a[12:15]
/* numPrefetchIter=0 */
/* dataAtIterA=0 numReadsIterA=2 skipReadsIterA=1 readsPerIterA=8 */
/* dataAtIterB=0 numReadsIterB=2 skipReadsIterB=1 readsPerIterB=2 */


/* iter 2 (reset local read pointers iteration)  (swap and reset local write pointers iteration)  (swap local read pointers iteration)  */

/*  grEndMfmaIndex:3, lwStartMfmaIndex:19, lwEndMfmaIndex:22  */
/*  numMfmaForLR:6, barrierMfmaIndex:25 */
/*  mfmaIndex:16  */
_ds_load_b32 v[vgprValuA_X1_I0+0], v[vgprLocalReadAddrA] offset:6144 // L -> Reg lro=1536 swapByteOffset=0 ti=16 vIdx=0 rIdx=0 oIdx=0 buffer=1 iui=0
_ds_load_b32 v[vgprValuB_X1_I0+0], v[vgprLocalReadAddrB] offset:6144 // L -> Reg lro=1536 swapByteOffset=0 ti=64 vIdx=0 rIdx=0 oIdx=0 buffer=1 iui=0
s_waitcnt lgkmcnt(2)                               // lgkmcnt=0 vmcnt=-1wait for prior local read local write old=0, new=2 newLW=0 newLR=2
v_mfma_f32_16x16x4f32 a[0+0:3+0], v[vgprValuA_X0_I0+0+0+0], v[vgprValuB_X0_I0+0+0+0], a[0:3]
/*  mfmaIndex:17  */
_ds_load_b32 v[vgprValuA_X1_I0+1], v[vgprLocalReadAddrA] offset:6208 // L -> Reg lro=1536 swapByteOffset=0 ti=16 vIdx=1 rIdx=0 oIdx=0 buffer=1 iui=0
_ds_load_b32 v[vgprValuA_X1_I0+2], v[vgprLocalReadAddrA] offset:6272 // L -> Reg lro=1536 swapByteOffset=0 ti=16 vIdx=2 rIdx=0 oIdx=0 buffer=1 iui=0
v_mfma_f32_16x16x4f32 a[4+0:7+0], v[vgprValuA_X0_I0+1+0+0], v[vgprValuB_X0_I0+0+0+0], a[4:7]
/*  mfmaIndex:18  */
_ds_load_b32 v[vgprValuA_X1_I0+3], v[vgprLocalReadAddrA] offset:6336 // L -> Reg lro=1536 swapByteOffset=0 ti=16 vIdx=3 rIdx=0 oIdx=0 buffer=1 iui=0
_ds_load_b32 v[vgprValuA_X1_I1+0], v[vgprLocalReadAddrA] offset:7168 // L -> Reg lro=1792 swapByteOffset=0 ti=16 vIdx=0 rIdx=0 oIdx=0 buffer=1 iui=1
v_mfma_f32_16x16x4f32 a[8+0:11+0], v[vgprValuA_X0_I0+2+0+0], v[vgprValuB_X0_I0+0+0+0], a[8:11]
/*  mfmaIndex:19  */
_ds_load_b32 v[vgprValuB_X1_I1+0], v[vgprLocalReadAddrB] offset:7168 // L -> Reg lro=1792 swapByteOffset=0 ti=64 vIdx=0 rIdx=0 oIdx=0 buffer=1 iui=1
/* sched write - iter 2 writesPerItem=1 */
s_waitcnt vmcnt(0)                                 // lgkmcnt=-1 vmcnt=0wait for global read before writing to local
_ds_store_b128 v[vgprLocalWriteAddrA], v[vgprG2LA+0:vgprG2LA+0+3] offset:16384 // lwoA_0_0_0_0 = (0*LSCA) + (0*LSPA)(*MT0I+PAD) = 16384
v_mfma_f32_16x16x4f32 a[12+0:15+0], v[vgprValuA_X0_I0+3+0+0], v[vgprValuB_X0_I0+0+0+0], a[12:15]
/*  mfmaIndex:20  */
_ds_load_b32 v[vgprValuA_X1_I1+1], v[vgprLocalReadAddrA] offset:7232 // L -> Reg lro=1792 swapByteOffset=0 ti=16 vIdx=1 rIdx=0 oIdx=0 buffer=1 iui=1
/* sched write - iter 2 writesPerItem=1 */
s_waitcnt vmcnt(0)                                 // lgkmcnt=-1 vmcnt=0wait for global read before writing to local
_ds_store_b128 v[vgprLocalWriteAddrA], v[vgprG2LA+4:vgprG2LA+4+3] offset:20480 // lwoA_0_0_1_0 = (0*LSCA) + (1*LSPA)(*MT0I+PAD) = 20480
v_mfma_f32_16x16x4f32 a[0+0:3+0], v[vgprValuA_X0_I1+0+0+0], v[vgprValuB_X0_I1+0+0+0], a[0:3]
/*  mfmaIndex:21  */
_ds_load_b32 v[vgprValuA_X1_I1+2], v[vgprLocalReadAddrA] offset:7296 // L -> Reg lro=1792 swapByteOffset=0 ti=16 vIdx=2 rIdx=0 oIdx=0 buffer=1 iui=1
/* sched write - iter 2 writesPerItem=1 */
s_waitcnt vmcnt(0)                                 // lgkmcnt=-1 vmcnt=0wait for global read before writing to local
_ds_store_b128 v[vgprLocalWriteAddrB], v[vgprG2LB+0:vgprG2LB+0+3] offset:16384 // lwoB_0_0_0_0 = (0*LSCB) + (0*LSPB)(*MT1J+PAD) = 16384
v_mfma_f32_16x16x4f32 a[4+0:7+0], v[vgprValuA_X0_I1+1+0+0], v[vgprValuB_X0_I1+0+0+0], a[4:7]
/*  mfmaIndex:22  */
_ds_load_b32 v[vgprValuA_X1_I1+3], v[vgprLocalReadAddrA] offset:7360 // L -> Reg lro=1792 swapByteOffset=0 ti=16 vIdx=3 rIdx=0 oIdx=0 buffer=1 iui=1
/* sched write - iter 2 writesPerItem=1 */
s_waitcnt vmcnt(0)                                 // lgkmcnt=-1 vmcnt=0wait for global read before writing to local
_ds_store_b128 v[vgprLocalWriteAddrB], v[vgprG2LB+4:vgprG2LB+4+3] offset:20480 // lwoB_0_0_1_0 = (0*LSCB) + (1*LSPB)(*MT1J+PAD) = 20480

/* local write swap offsets a */

/* (EPS=1) local write swap internal offset -> 0 */

/* local write swap offsets b */

/* (EPS=1) local write swap internal offset -> 0 */
v_mfma_f32_16x16x4f32 a[8+0:11+0], v[vgprValuA_X0_I1+2+0+0], v[vgprValuB_X0_I1+0+0+0], a[8:11]
/*  mfmaIndex:23  */
/* localReadsVacancy: latencyLeft 5 */

/* local read swap offsets a */

/* local read swap internal offset -> 16384 */

/* local read swap offsets b */

/* local read swap internal offset -> 16384 */

/* local read init pointers a */

/* localReadInitPointers */

/* local read init pointers b */

/* localReadInitPointers */
v_mfma_f32_16x16x4f32 a[12+0:15+0], v[vgprValuA_X0_I1+3+0+0], v[vgprValuB_X0_I1+0+0+0], a[12:15]
/* numPrefetchIter=0 */
/* dataAtIterA=1 numReadsIterA=3 skipReadsIterA=1 readsPerIterA=8 */
/* dataAtIterB=1 numReadsIterB=3 skipReadsIterB=1 readsPerIterB=2 */


/* iter 3 */

/*  grEndMfmaIndex:3, lwStartMfmaIndex:19, lwEndMfmaIndex:22  */
/*  numMfmaForLR:6, barrierMfmaIndex:25 */
/*  mfmaIndex:24  */
s_waitcnt lgkmcnt(1)                               // lgkmcnt=0 vmcnt=-1wait for prior local read local write old=0, new=1 newLW=1 newLR=0
v_mfma_f32_16x16x4f32 a[0+0:3+0], v[vgprValuA_X1_I0+0+0+0], v[vgprValuB_X1_I0+0+0+0], a[0:3]
/*  mfmaIndex:25  */
s_waitcnt lgkmcnt(0)                               // lgkmcnt=0 vmcnt=-13wait for local write
s_waitcnt lgkmcnt(0) & vmcnt(0)                    // force waitcnt0
s_barrier //
v_mfma_f32_16x16x4f32 a[4+0:7+0], v[vgprValuA_X1_I0+1+0+0], v[vgprValuB_X1_I0+0+0+0], a[4:7]
/*  mfmaIndex:26  */
_ds_load_b32 v[vgprValuA_X0_I0+0], v[vgprLocalReadAddrA] offset:16384 // L -> Reg lro=0 swapByteOffset=16384 ti=16 vIdx=0 rIdx=0 oIdx=0 buffer=0 iui=0
_ds_load_b32 v[vgprValuB_X0_I0+0], v[vgprLocalReadAddrB] offset:16384 // L -> Reg lro=0 swapByteOffset=16384 ti=64 vIdx=0 rIdx=0 oIdx=0 buffer=0 iui=0
v_mfma_f32_16x16x4f32 a[8+0:11+0], v[vgprValuA_X1_I0+2+0+0], v[vgprValuB_X1_I0+0+0+0], a[8:11]
/*  mfmaIndex:27  */
_ds_load_b32 v[vgprValuA_X0_I0+1], v[vgprLocalReadAddrA] offset:16448 // L -> Reg lro=0 swapByteOffset=16384 ti=16 vIdx=1 rIdx=0 oIdx=0 buffer=0 iui=0
_ds_load_b32 v[vgprValuA_X0_I0+2], v[vgprLocalReadAddrA] offset:16512 // L -> Reg lro=0 swapByteOffset=16384 ti=16 vIdx=2 rIdx=0 oIdx=0 buffer=0 iui=0
v_mfma_f32_16x16x4f32 a[12+0:15+0], v[vgprValuA_X1_I0+3+0+0], v[vgprValuB_X1_I0+0+0+0], a[12:15]
/*  mfmaIndex:28  */
_ds_load_b32 v[vgprValuA_X0_I0+3], v[vgprLocalReadAddrA] offset:16576 // L -> Reg lro=0 swapByteOffset=16384 ti=16 vIdx=3 rIdx=0 oIdx=0 buffer=0 iui=0
_ds_load_b32 v[vgprValuA_X0_I1+0], v[vgprLocalReadAddrA] offset:17408 // L -> Reg lro=256 swapByteOffset=16384 ti=16 vIdx=0 rIdx=0 oIdx=0 buffer=0 iui=1
v_mfma_f32_16x16x4f32 a[0+0:3+0], v[vgprValuA_X1_I1+0+0+0], v[vgprValuB_X1_I1+0+0+0], a[0:3]
/*  mfmaIndex:29  */
_ds_load_b32 v[vgprValuB_X0_I1+0], v[vgprLocalReadAddrB] offset:17408 // L -> Reg lro=256 swapByteOffset=16384 ti=64 vIdx=0 rIdx=0 oIdx=0 buffer=0 iui=1
_ds_load_b32 v[vgprValuA_X0_I1+1], v[vgprLocalReadAddrA] offset:17472 // L -> Reg lro=256 swapByteOffset=16384 ti=16 vIdx=1 rIdx=0 oIdx=0 buffer=0 iui=1
v_mfma_f32_16x16x4f32 a[4+0:7+0], v[vgprValuA_X1_I1+1+0+0], v[vgprValuB_X1_I1+0+0+0], a[4:7]
/*  mfmaIndex:30  */
_ds_load_b32 v[vgprValuA_X0_I1+2], v[vgprLocalReadAddrA] offset:17536 // L -> Reg lro=256 swapByteOffset=16384 ti=16 vIdx=2 rIdx=0 oIdx=0 buffer=0 iui=1
_ds_load_b32 v[vgprValuA_X0_I1+3], v[vgprLocalReadAddrA] offset:17600 // L -> Reg lro=256 swapByteOffset=16384 ti=16 vIdx=3 rIdx=0 oIdx=0 buffer=0 iui=1
v_mfma_f32_16x16x4f32 a[8+0:11+0], v[vgprValuA_X1_I1+2+0+0], v[vgprValuB_X1_I1+0+0+0], a[8:11]
/*  mfmaIndex:31  */
v_mfma_f32_16x16x4f32 a[12+0:15+0], v[vgprValuA_X1_I1+3+0+0], v[vgprValuB_X1_I1+0+0+0], a[12:15]
/* numPrefetchIter=1 */
/* dataAtIterA=2 numReadsIterA=3 skipReadsIterA=1 readsPerIterA=8 */
/* dataAtIterB=2 numReadsIterB=3 skipReadsIterB=1 readsPerIterB=2 */


/******************************************/
/* Unrolled Loop - End 1/2                */
/******************************************/


/* closeLoop loopL finalLoop=0 tailLoop=0 */
s_sub_u32 s[sgprLoopCounterL], s[sgprLoopCounterL], 1 // dec counterL
s_cmp_eq_i32 s[sgprLoopCounterL], 0x1              // counterL==1
s_cbranch_scc1 LoopEndL_oddexit_3                  // exit LoopL


/******************************************/
/* Unrolled Loop 2/2 - Begin              */
/******************************************/

label_0014: // LoopCopy2 


/* Begin Each Unroll: Check VGPR.checkin for INT8 LW */


	;; [unrolled: 1-line block ×3, first 2 shown]
/* iter 0 */

/*  grEndMfmaIndex:3, lwStartMfmaIndex:19, lwEndMfmaIndex:22  */
/*  numMfmaForLR:6, barrierMfmaIndex:25 */
/*  mfmaIndex:0  */
_buffer_load_b128 v[vgprG2LA+0:vgprG2LA+0+3], v[vgprGlobalReadOffsetA+0], s[sgprSrdA:sgprSrdA+3], 0, offen offset:0 // G -> Reg 0_0_0_0
s_waitcnt lgkmcnt(0)                               // lgkmcnt=0 vmcnt=-1wait for prior local read local write old=0, new=0 newLW=0 newLR=0
v_mfma_f32_16x16x4f32 a[0+0:3+0], v[vgprValuA_X0_I0+0+0+0], v[vgprValuB_X0_I0+0+0+0], a[0:3]
/*  mfmaIndex:1  */
_ds_load_b32 v[vgprValuA_X1_I0+0], v[vgprLocalReadAddrA] offset:18432 // L -> Reg lro=512 swapByteOffset=16384 ti=16 vIdx=0 rIdx=0 oIdx=0 buffer=1 iui=0
_ds_load_b32 v[vgprValuB_X1_I0+0], v[vgprLocalReadAddrB] offset:18432 // L -> Reg lro=512 swapByteOffset=16384 ti=64 vIdx=0 rIdx=0 oIdx=0 buffer=1 iui=0
_buffer_load_b128 v[vgprG2LA+4:vgprG2LA+4+3], v[vgprGlobalReadOffsetA+1], s[sgprSrdA:sgprSrdA+3], 0, offen offset:0 // G -> Reg 0_0_1_0
v_mfma_f32_16x16x4f32 a[4+0:7+0], v[vgprValuA_X0_I0+1+0+0], v[vgprValuB_X0_I0+0+0+0], a[4:7]
/*  mfmaIndex:2  */
_ds_load_b32 v[vgprValuA_X1_I0+1], v[vgprLocalReadAddrA] offset:18496 // L -> Reg lro=512 swapByteOffset=16384 ti=16 vIdx=1 rIdx=0 oIdx=0 buffer=1 iui=0
_ds_load_b32 v[vgprValuA_X1_I0+2], v[vgprLocalReadAddrA] offset:18560 // L -> Reg lro=512 swapByteOffset=16384 ti=16 vIdx=2 rIdx=0 oIdx=0 buffer=1 iui=0
_buffer_load_b128 v[vgprG2LB+0:vgprG2LB+0+3], v[vgprGlobalReadOffsetB+0], s[sgprSrdB:sgprSrdB+3], 0, offen offset:0 // G -> Reg 0_0_0_0
v_mfma_f32_16x16x4f32 a[8+0:11+0], v[vgprValuA_X0_I0+2+0+0], v[vgprValuB_X0_I0+0+0+0], a[8:11]
/*  mfmaIndex:3  */
_ds_load_b32 v[vgprValuA_X1_I0+3], v[vgprLocalReadAddrA] offset:18624 // L -> Reg lro=512 swapByteOffset=16384 ti=16 vIdx=3 rIdx=0 oIdx=0 buffer=1 iui=0
_ds_load_b32 v[vgprValuA_X1_I1+0], v[vgprLocalReadAddrA] offset:19456 // L -> Reg lro=768 swapByteOffset=16384 ti=16 vIdx=0 rIdx=0 oIdx=0 buffer=1 iui=1
_buffer_load_b128 v[vgprG2LB+4:vgprG2LB+4+3], v[vgprGlobalReadOffsetB+1], s[sgprSrdB:sgprSrdB+3], 0, offen offset:0 // G -> Reg 0_0_1_0
v_mfma_f32_16x16x4f32 a[12+0:15+0], v[vgprValuA_X0_I0+3+0+0], v[vgprValuB_X0_I0+0+0+0], a[12:15]
/*  mfmaIndex:4  */
_ds_load_b32 v[vgprValuB_X1_I1+0], v[vgprLocalReadAddrB] offset:19456 // L -> Reg lro=768 swapByteOffset=16384 ti=64 vIdx=0 rIdx=0 oIdx=0 buffer=1 iui=1
_ds_load_b32 v[vgprValuA_X1_I1+1], v[vgprLocalReadAddrA] offset:19520 // L -> Reg lro=768 swapByteOffset=16384 ti=16 vIdx=1 rIdx=0 oIdx=0 buffer=1 iui=1

/* global read inc A loopL */
s_cmp_eq_u32 s[sgprLoopCounterL], s[sgprStaggerUIter] // Is this the wrapIter?
s_cselect_b32 s54, s[sgprWrapUA+0], s[sgprGlobalReadIncsA+0] // incLower <- ?
s_cselect_b32 s55, s[sgprWrapUA+1], 0              // incUpper <- ?
v_mfma_f32_16x16x4f32 a[0+0:3+0], v[vgprValuA_X0_I1+0+0+0], v[vgprValuB_X0_I1+0+0+0], a[0:3]
/*  mfmaIndex:5  */
_ds_load_b32 v[vgprValuA_X1_I1+2], v[vgprLocalReadAddrA] offset:19584 // L -> Reg lro=768 swapByteOffset=16384 ti=16 vIdx=2 rIdx=0 oIdx=0 buffer=1 iui=1
_ds_load_b32 v[vgprValuA_X1_I1+3], v[vgprLocalReadAddrA] offset:19648 // L -> Reg lro=768 swapByteOffset=16384 ti=16 vIdx=3 rIdx=0 oIdx=0 buffer=1 iui=1
/* localReadsVacancy: latencyLeft 1 */
s_add_u32 s[sgprSrdA+0], s[sgprSrdA+0], s54        // gra SRD += inc(lower)
s_addc_u32  s[sgprSrdA+1], s[sgprSrdA+1], s55      // gra SRD += inc(upper)
s_sub_u32 s[sgprShadowLimitA+0], s[sgprShadowLimitA+0], s54 // limit -= inc)
v_mfma_f32_16x16x4f32 a[4+0:7+0], v[vgprValuA_X0_I1+1+0+0], v[vgprValuB_X0_I1+0+0+0], a[4:7]
/*  mfmaIndex:6  */
/* localReadsVacancy: latencyLeft 5 */
s_subb_u32 s[sgprShadowLimitA+1], s[sgprShadowLimitA+1], s55 // limit -= inc)
s_cmp_eq_u32 s[sgprShadowLimitA+1], 0              // are we within 2^32?
s_cselect_b32 s[sgprSrdA+2], s[sgprShadowLimitA+0], BufferLimitA // Move shadow to real if we are within 2^32
v_mfma_f32_16x16x4f32 a[8+0:11+0], v[vgprValuA_X0_I1+2+0+0], v[vgprValuB_X0_I1+0+0+0], a[8:11]
/*  mfmaIndex:7  */
/* localReadsVacancy: latencyLeft 5 */

/* global read inc B loopL */
s_cmp_eq_u32 s[sgprLoopCounterL], s[sgprStaggerUIter] // Is this the wrapIter?
s_cselect_b32 s54, s[sgprWrapUB+0], s[sgprGlobalReadIncsB+0] // incLower <- ?
s_cselect_b32 s55, s[sgprWrapUB+1], 0              // incUpper <- ?
v_mfma_f32_16x16x4f32 a[12+0:15+0], v[vgprValuA_X0_I1+3+0+0], v[vgprValuB_X0_I1+0+0+0], a[12:15]
/* numPrefetchIter=0 */
/* dataAtIterA=-1 numReadsIterA=1 skipReadsIterA=1 readsPerIterA=8 */
/* dataAtIterB=-1 numReadsIterB=1 skipReadsIterB=1 readsPerIterB=2 */


/* iter 1 */

/*  grEndMfmaIndex:3, lwStartMfmaIndex:19, lwEndMfmaIndex:22  */
/*  numMfmaForLR:6, barrierMfmaIndex:25 */
/*  mfmaIndex:8  */
_ds_load_b32 v[vgprValuA_X0_I0+0], v[vgprLocalReadAddrA] offset:20480 // L -> Reg lro=1024 swapByteOffset=16384 ti=16 vIdx=0 rIdx=0 oIdx=0 buffer=0 iui=0
_ds_load_b32 v[vgprValuB_X0_I0+0], v[vgprLocalReadAddrB] offset:20480 // L -> Reg lro=1024 swapByteOffset=16384 ti=64 vIdx=0 rIdx=0 oIdx=0 buffer=0 iui=0
s_add_u32 s[sgprSrdB+0], s[sgprSrdB+0], s54        // gra SRD += inc(lower)
s_addc_u32  s[sgprSrdB+1], s[sgprSrdB+1], s55      // gra SRD += inc(upper)
s_sub_u32 s[sgprShadowLimitB+0], s[sgprShadowLimitB+0], s54 // limit -= inc)
s_waitcnt lgkmcnt(2)                               // lgkmcnt=0 vmcnt=-1wait for prior local read local write old=0, new=2 newLW=0 newLR=2
v_mfma_f32_16x16x4f32 a[0+0:3+0], v[vgprValuA_X1_I0+0+0+0], v[vgprValuB_X1_I0+0+0+0], a[0:3]
/*  mfmaIndex:9  */
_ds_load_b32 v[vgprValuA_X0_I0+1], v[vgprLocalReadAddrA] offset:20544 // L -> Reg lro=1024 swapByteOffset=16384 ti=16 vIdx=1 rIdx=0 oIdx=0 buffer=0 iui=0
_ds_load_b32 v[vgprValuA_X0_I0+2], v[vgprLocalReadAddrA] offset:20608 // L -> Reg lro=1024 swapByteOffset=16384 ti=16 vIdx=2 rIdx=0 oIdx=0 buffer=0 iui=0
s_subb_u32 s[sgprShadowLimitB+1], s[sgprShadowLimitB+1], s55 // limit -= inc)
s_cmp_eq_u32 s[sgprShadowLimitB+1], 0              // are we within 2^32?
s_cselect_b32 s[sgprSrdB+2], s[sgprShadowLimitB+0], BufferLimitB // Move shadow to real if we are within 2^32
v_mfma_f32_16x16x4f32 a[4+0:7+0], v[vgprValuA_X1_I0+1+0+0], v[vgprValuB_X1_I0+0+0+0], a[4:7]
/*  mfmaIndex:10  */
_ds_load_b32 v[vgprValuA_X0_I0+3], v[vgprLocalReadAddrA] offset:20672 // L -> Reg lro=1024 swapByteOffset=16384 ti=16 vIdx=3 rIdx=0 oIdx=0 buffer=0 iui=0
_ds_load_b32 v[vgprValuA_X0_I1+0], v[vgprLocalReadAddrA] offset:21504 // L -> Reg lro=1280 swapByteOffset=16384 ti=16 vIdx=0 rIdx=0 oIdx=0 buffer=0 iui=1
v_mfma_f32_16x16x4f32 a[8+0:11+0], v[vgprValuA_X1_I0+2+0+0], v[vgprValuB_X1_I0+0+0+0], a[8:11]
/*  mfmaIndex:11  */
_ds_load_b32 v[vgprValuB_X0_I1+0], v[vgprLocalReadAddrB] offset:21504 // L -> Reg lro=1280 swapByteOffset=16384 ti=64 vIdx=0 rIdx=0 oIdx=0 buffer=0 iui=1
_ds_load_b32 v[vgprValuA_X0_I1+1], v[vgprLocalReadAddrA] offset:21568 // L -> Reg lro=1280 swapByteOffset=16384 ti=16 vIdx=1 rIdx=0 oIdx=0 buffer=0 iui=1
v_mfma_f32_16x16x4f32 a[12+0:15+0], v[vgprValuA_X1_I0+3+0+0], v[vgprValuB_X1_I0+0+0+0], a[12:15]
/*  mfmaIndex:12  */
_ds_load_b32 v[vgprValuA_X0_I1+2], v[vgprLocalReadAddrA] offset:21632 // L -> Reg lro=1280 swapByteOffset=16384 ti=16 vIdx=2 rIdx=0 oIdx=0 buffer=0 iui=1
_ds_load_b32 v[vgprValuA_X0_I1+3], v[vgprLocalReadAddrA] offset:21696 // L -> Reg lro=1280 swapByteOffset=16384 ti=16 vIdx=3 rIdx=0 oIdx=0 buffer=0 iui=1
/* localReadsVacancy: latencyLeft 1 */
v_mfma_f32_16x16x4f32 a[0+0:3+0], v[vgprValuA_X1_I1+0+0+0], v[vgprValuB_X1_I1+0+0+0], a[0:3]
/*  mfmaIndex:13  */
/* localReadsVacancy: latencyLeft 5 */
v_mfma_f32_16x16x4f32 a[4+0:7+0], v[vgprValuA_X1_I1+1+0+0], v[vgprValuB_X1_I1+0+0+0], a[4:7]
/*  mfmaIndex:14  */
	;; [unrolled: 3-line block ×3, first 2 shown]
/* localReadsVacancy: latencyLeft 5 */
v_mfma_f32_16x16x4f32 a[12+0:15+0], v[vgprValuA_X1_I1+3+0+0], v[vgprValuB_X1_I1+0+0+0], a[12:15]
/* numPrefetchIter=0 */
/* dataAtIterA=0 numReadsIterA=2 skipReadsIterA=1 readsPerIterA=8 */
/* dataAtIterB=0 numReadsIterB=2 skipReadsIterB=1 readsPerIterB=2 */


/* iter 2 (reset local read pointers iteration)  (swap and reset local write pointers iteration)  (swap local read pointers iteration)  */

/*  grEndMfmaIndex:3, lwStartMfmaIndex:19, lwEndMfmaIndex:22  */
/*  numMfmaForLR:6, barrierMfmaIndex:25 */
/*  mfmaIndex:16  */
_ds_load_b32 v[vgprValuA_X1_I0+0], v[vgprLocalReadAddrA] offset:22528 // L -> Reg lro=1536 swapByteOffset=16384 ti=16 vIdx=0 rIdx=0 oIdx=0 buffer=1 iui=0
_ds_load_b32 v[vgprValuB_X1_I0+0], v[vgprLocalReadAddrB] offset:22528 // L -> Reg lro=1536 swapByteOffset=16384 ti=64 vIdx=0 rIdx=0 oIdx=0 buffer=1 iui=0
s_waitcnt lgkmcnt(2)                               // lgkmcnt=0 vmcnt=-1wait for prior local read local write old=0, new=2 newLW=0 newLR=2
v_mfma_f32_16x16x4f32 a[0+0:3+0], v[vgprValuA_X0_I0+0+0+0], v[vgprValuB_X0_I0+0+0+0], a[0:3]
/*  mfmaIndex:17  */
_ds_load_b32 v[vgprValuA_X1_I0+1], v[vgprLocalReadAddrA] offset:22592 // L -> Reg lro=1536 swapByteOffset=16384 ti=16 vIdx=1 rIdx=0 oIdx=0 buffer=1 iui=0
_ds_load_b32 v[vgprValuA_X1_I0+2], v[vgprLocalReadAddrA] offset:22656 // L -> Reg lro=1536 swapByteOffset=16384 ti=16 vIdx=2 rIdx=0 oIdx=0 buffer=1 iui=0
v_mfma_f32_16x16x4f32 a[4+0:7+0], v[vgprValuA_X0_I0+1+0+0], v[vgprValuB_X0_I0+0+0+0], a[4:7]
/*  mfmaIndex:18  */
_ds_load_b32 v[vgprValuA_X1_I0+3], v[vgprLocalReadAddrA] offset:22720 // L -> Reg lro=1536 swapByteOffset=16384 ti=16 vIdx=3 rIdx=0 oIdx=0 buffer=1 iui=0
_ds_load_b32 v[vgprValuA_X1_I1+0], v[vgprLocalReadAddrA] offset:23552 // L -> Reg lro=1792 swapByteOffset=16384 ti=16 vIdx=0 rIdx=0 oIdx=0 buffer=1 iui=1
v_mfma_f32_16x16x4f32 a[8+0:11+0], v[vgprValuA_X0_I0+2+0+0], v[vgprValuB_X0_I0+0+0+0], a[8:11]
/*  mfmaIndex:19  */
_ds_load_b32 v[vgprValuB_X1_I1+0], v[vgprLocalReadAddrB] offset:23552 // L -> Reg lro=1792 swapByteOffset=16384 ti=64 vIdx=0 rIdx=0 oIdx=0 buffer=1 iui=1
/* sched write - iter 2 writesPerItem=1 */
s_waitcnt vmcnt(0)                                 // lgkmcnt=-1 vmcnt=0wait for global read before writing to local
_ds_store_b128 v[vgprLocalWriteAddrA], v[vgprG2LA+0:vgprG2LA+0+3] offset:0 // lwoA_0_0_0_0 = (0*LSCA) + (0*LSPA)(*MT0I+PAD) = 0
v_mfma_f32_16x16x4f32 a[12+0:15+0], v[vgprValuA_X0_I0+3+0+0], v[vgprValuB_X0_I0+0+0+0], a[12:15]
/*  mfmaIndex:20  */
_ds_load_b32 v[vgprValuA_X1_I1+1], v[vgprLocalReadAddrA] offset:23616 // L -> Reg lro=1792 swapByteOffset=16384 ti=16 vIdx=1 rIdx=0 oIdx=0 buffer=1 iui=1
/* sched write - iter 2 writesPerItem=1 */
s_waitcnt vmcnt(0)                                 // lgkmcnt=-1 vmcnt=0wait for global read before writing to local
_ds_store_b128 v[vgprLocalWriteAddrA], v[vgprG2LA+4:vgprG2LA+4+3] offset:4096 // lwoA_0_0_1_0 = (0*LSCA) + (1*LSPA)(*MT0I+PAD) = 4096
v_mfma_f32_16x16x4f32 a[0+0:3+0], v[vgprValuA_X0_I1+0+0+0], v[vgprValuB_X0_I1+0+0+0], a[0:3]
/*  mfmaIndex:21  */
_ds_load_b32 v[vgprValuA_X1_I1+2], v[vgprLocalReadAddrA] offset:23680 // L -> Reg lro=1792 swapByteOffset=16384 ti=16 vIdx=2 rIdx=0 oIdx=0 buffer=1 iui=1
/* sched write - iter 2 writesPerItem=1 */
s_waitcnt vmcnt(0)                                 // lgkmcnt=-1 vmcnt=0wait for global read before writing to local
_ds_store_b128 v[vgprLocalWriteAddrB], v[vgprG2LB+0:vgprG2LB+0+3] offset:0 // lwoB_0_0_0_0 = (0*LSCB) + (0*LSPB)(*MT1J+PAD) = 0
v_mfma_f32_16x16x4f32 a[4+0:7+0], v[vgprValuA_X0_I1+1+0+0], v[vgprValuB_X0_I1+0+0+0], a[4:7]
/*  mfmaIndex:22  */
_ds_load_b32 v[vgprValuA_X1_I1+3], v[vgprLocalReadAddrA] offset:23744 // L -> Reg lro=1792 swapByteOffset=16384 ti=16 vIdx=3 rIdx=0 oIdx=0 buffer=1 iui=1
/* sched write - iter 2 writesPerItem=1 */
s_waitcnt vmcnt(0)                                 // lgkmcnt=-1 vmcnt=0wait for global read before writing to local
_ds_store_b128 v[vgprLocalWriteAddrB], v[vgprG2LB+4:vgprG2LB+4+3] offset:4096 // lwoB_0_0_1_0 = (0*LSCB) + (1*LSPB)(*MT1J+PAD) = 4096

/* local write swap offsets a */

/* (EPS=1) local write swap internal offset -> 16384 */

/* local write swap offsets b */

/* (EPS=1) local write swap internal offset -> 16384 */
v_mfma_f32_16x16x4f32 a[8+0:11+0], v[vgprValuA_X0_I1+2+0+0], v[vgprValuB_X0_I1+0+0+0], a[8:11]
/*  mfmaIndex:23  */
/* localReadsVacancy: latencyLeft 5 */

/* local read swap offsets a */

/* local read swap internal offset -> 0 */

/* local read swap offsets b */

/* local read swap internal offset -> 0 */

/* local read init pointers a */

/* localReadInitPointers */

/* local read init pointers b */

/* localReadInitPointers */
v_mfma_f32_16x16x4f32 a[12+0:15+0], v[vgprValuA_X0_I1+3+0+0], v[vgprValuB_X0_I1+0+0+0], a[12:15]
/* numPrefetchIter=0 */
/* dataAtIterA=1 numReadsIterA=3 skipReadsIterA=1 readsPerIterA=8 */
/* dataAtIterB=1 numReadsIterB=3 skipReadsIterB=1 readsPerIterB=2 */


/* iter 3 */

/*  grEndMfmaIndex:3, lwStartMfmaIndex:19, lwEndMfmaIndex:22  */
/*  numMfmaForLR:6, barrierMfmaIndex:25 */
/*  mfmaIndex:24  */
s_waitcnt lgkmcnt(1)                               // lgkmcnt=0 vmcnt=-1wait for prior local read local write old=0, new=1 newLW=1 newLR=0
v_mfma_f32_16x16x4f32 a[0+0:3+0], v[vgprValuA_X1_I0+0+0+0], v[vgprValuB_X1_I0+0+0+0], a[0:3]
/*  mfmaIndex:25  */
s_waitcnt lgkmcnt(0)                               // lgkmcnt=0 vmcnt=-13wait for local write
s_waitcnt lgkmcnt(0) & vmcnt(0)                    // force waitcnt0
s_barrier //
v_mfma_f32_16x16x4f32 a[4+0:7+0], v[vgprValuA_X1_I0+1+0+0], v[vgprValuB_X1_I0+0+0+0], a[4:7]
/*  mfmaIndex:26  */
_ds_load_b32 v[vgprValuA_X0_I0+0], v[vgprLocalReadAddrA] offset:0 // L -> Reg lro=0 swapByteOffset=0 ti=16 vIdx=0 rIdx=0 oIdx=0 buffer=0 iui=0
_ds_load_b32 v[vgprValuB_X0_I0+0], v[vgprLocalReadAddrB] offset:0 // L -> Reg lro=0 swapByteOffset=0 ti=64 vIdx=0 rIdx=0 oIdx=0 buffer=0 iui=0
v_mfma_f32_16x16x4f32 a[8+0:11+0], v[vgprValuA_X1_I0+2+0+0], v[vgprValuB_X1_I0+0+0+0], a[8:11]
/*  mfmaIndex:27  */
_ds_load_b32 v[vgprValuA_X0_I0+1], v[vgprLocalReadAddrA] offset:64 // L -> Reg lro=0 swapByteOffset=0 ti=16 vIdx=1 rIdx=0 oIdx=0 buffer=0 iui=0
_ds_load_b32 v[vgprValuA_X0_I0+2], v[vgprLocalReadAddrA] offset:128 // L -> Reg lro=0 swapByteOffset=0 ti=16 vIdx=2 rIdx=0 oIdx=0 buffer=0 iui=0
v_mfma_f32_16x16x4f32 a[12+0:15+0], v[vgprValuA_X1_I0+3+0+0], v[vgprValuB_X1_I0+0+0+0], a[12:15]
/*  mfmaIndex:28  */
_ds_load_b32 v[vgprValuA_X0_I0+3], v[vgprLocalReadAddrA] offset:192 // L -> Reg lro=0 swapByteOffset=0 ti=16 vIdx=3 rIdx=0 oIdx=0 buffer=0 iui=0
_ds_load_b32 v[vgprValuA_X0_I1+0], v[vgprLocalReadAddrA] offset:1024 // L -> Reg lro=256 swapByteOffset=0 ti=16 vIdx=0 rIdx=0 oIdx=0 buffer=0 iui=1
v_mfma_f32_16x16x4f32 a[0+0:3+0], v[vgprValuA_X1_I1+0+0+0], v[vgprValuB_X1_I1+0+0+0], a[0:3]
/*  mfmaIndex:29  */
_ds_load_b32 v[vgprValuB_X0_I1+0], v[vgprLocalReadAddrB] offset:1024 // L -> Reg lro=256 swapByteOffset=0 ti=64 vIdx=0 rIdx=0 oIdx=0 buffer=0 iui=1
_ds_load_b32 v[vgprValuA_X0_I1+1], v[vgprLocalReadAddrA] offset:1088 // L -> Reg lro=256 swapByteOffset=0 ti=16 vIdx=1 rIdx=0 oIdx=0 buffer=0 iui=1
v_mfma_f32_16x16x4f32 a[4+0:7+0], v[vgprValuA_X1_I1+1+0+0], v[vgprValuB_X1_I1+0+0+0], a[4:7]
/*  mfmaIndex:30  */
_ds_load_b32 v[vgprValuA_X0_I1+2], v[vgprLocalReadAddrA] offset:1152 // L -> Reg lro=256 swapByteOffset=0 ti=16 vIdx=2 rIdx=0 oIdx=0 buffer=0 iui=1
_ds_load_b32 v[vgprValuA_X0_I1+3], v[vgprLocalReadAddrA] offset:1216 // L -> Reg lro=256 swapByteOffset=0 ti=16 vIdx=3 rIdx=0 oIdx=0 buffer=0 iui=1
v_mfma_f32_16x16x4f32 a[8+0:11+0], v[vgprValuA_X1_I1+2+0+0], v[vgprValuB_X1_I1+0+0+0], a[8:11]
/*  mfmaIndex:31  */
v_mfma_f32_16x16x4f32 a[12+0:15+0], v[vgprValuA_X1_I1+3+0+0], v[vgprValuB_X1_I1+0+0+0], a[12:15]
/* numPrefetchIter=1 */
/* dataAtIterA=2 numReadsIterA=3 skipReadsIterA=1 readsPerIterA=8 */
/* dataAtIterB=2 numReadsIterB=3 skipReadsIterB=1 readsPerIterB=2 */


/******************************************/
/* Unrolled Loop - End 2/2 (final)        */
/******************************************/


/* closeLoop loopL finalLoop=1 tailLoop=0 */
s_sub_u32 s[sgprLoopCounterL], s[sgprLoopCounterL], 1 // dec counterL
s_cmp_eq_i32 s[sgprLoopCounterL], 0x1              // counterL==1
s_cbranch_scc0 LoopBeginL_1                        // restart LoopL
LoopEndL_evenexit_4: // unroll loop eveniter exit
s_branch LoopEndL_2                                // exit unroll loopL (and skip second exit code)
LoopEndL_oddexit_3: // unroll loop odditer exit

/* Select high bank of LDS */
v_xor_b32 v[vgprLocalReadAddrA], 0x4000, v[vgprLocalReadAddrA] // swap Red Blk
v_xor_b32 v[vgprLocalReadAddrB], 0x4000, v[vgprLocalReadAddrB] // swap Red Blk
LoopEndL_2:


/* Before NLL: Check VGPR.checkin for INT8 LW */


/******************************************/
/* Opt. NoLoadLoop Without PAP - Begin                                      */
/******************************************/

s_cmpk_eq_u32 s[sgprBeta], 0x0                     // Beta == 0
s_cbranch_scc0 OptNLL_End_15                       // Branch if Beta is not zero

s_cmp_eq_u32 s[sgprAlpha], 1.0                     // Alpha == 1.0 ?
s_cbranch_scc0 OptNLL_End_15                       // branch if alpha != 1

s_and_b32 s54, 63, s[sgprSizeI]                    // s54 = s[sgprSizeI] % 64
s_add_u32 s55, -0x1, s[sgprNumWorkGroups0]         // 
s_cmp_ge_u32 s[sgprWorkGroup0], s55                // wg0 >= nwg0-1 ?
s_cselect_b32 s54, s54, 0                          // set rMT0
s_cmpk_gt_u32 s54, 0x0                             // rMT0 > 0
s_cbranch_scc1 OptNLL_End_15                       // jump if edges required
s_and_b32 s54, 63, s[sgprSizeJ]                    // s54 = s[sgprSizeJ] % 64
s_add_u32 s55, -0x1, s[sgprNumWorkGroups1]         // 
s_cmp_ge_u32 s[sgprWorkGroup1], s55                // wg1 >= nwg1-1
s_cselect_b32 s54, s54, 0                          // set rMT1
s_cmpk_gt_u32 s54, 0x0                             // rMT1 > 0
s_cbranch_scc1 OptNLL_End_15                       // jump if edges required

s_and_b32 s55, 31, s[sgprSizesSum+0]               // s55 = s[sgprSizesSum+0] % 32
s_cmp_eq_u32 s55, 0x0                              // numIterL == 0
s_cbranch_scc0 OptNLL_End_15                       // skip if tail loop required


	;; [unrolled: 1-line block ×3, first 2 shown]
/* iter 0 (last unrolled loop) */

/*  grEndMfmaIndex:0, lwStartMfmaIndex:22, lwEndMfmaIndex:22  */
/*  numMfmaForLR:6, barrierMfmaIndex:25 */
/*  mfmaIndex:0  */
s_waitcnt lgkmcnt(0)                               // lgkmcnt=0 vmcnt=-1wait for prior local read local write old=0, new=0 newLW=0 newLR=0
v_mfma_f32_16x16x4f32 a[0+0:3+0], v[vgprValuA_X0_I0+0+0+0], v[vgprValuB_X0_I0+0+0+0], a[0:3]
/*  mfmaIndex:1  */
_ds_load_b32 v[vgprValuA_X1_I0+0], v[vgprLocalReadAddrA] offset:2048 // L -> Reg lro=512 swapByteOffset=0 ti=16 vIdx=0 rIdx=0 oIdx=0 buffer=1 iui=0
_ds_load_b32 v[vgprValuB_X1_I0+0], v[vgprLocalReadAddrB] offset:2048 // L -> Reg lro=512 swapByteOffset=0 ti=64 vIdx=0 rIdx=0 oIdx=0 buffer=1 iui=0
v_mfma_f32_16x16x4f32 a[4+0:7+0], v[vgprValuA_X0_I0+1+0+0], v[vgprValuB_X0_I0+0+0+0], a[4:7]
/*  mfmaIndex:2  */
_ds_load_b32 v[vgprValuA_X1_I0+1], v[vgprLocalReadAddrA] offset:2112 // L -> Reg lro=512 swapByteOffset=0 ti=16 vIdx=1 rIdx=0 oIdx=0 buffer=1 iui=0
_ds_load_b32 v[vgprValuA_X1_I0+2], v[vgprLocalReadAddrA] offset:2176 // L -> Reg lro=512 swapByteOffset=0 ti=16 vIdx=2 rIdx=0 oIdx=0 buffer=1 iui=0
v_mfma_f32_16x16x4f32 a[8+0:11+0], v[vgprValuA_X0_I0+2+0+0], v[vgprValuB_X0_I0+0+0+0], a[8:11]
/*  mfmaIndex:3  */
_ds_load_b32 v[vgprValuA_X1_I0+3], v[vgprLocalReadAddrA] offset:2240 // L -> Reg lro=512 swapByteOffset=0 ti=16 vIdx=3 rIdx=0 oIdx=0 buffer=1 iui=0
_ds_load_b32 v[vgprValuA_X1_I1+0], v[vgprLocalReadAddrA] offset:3072 // L -> Reg lro=768 swapByteOffset=0 ti=16 vIdx=0 rIdx=0 oIdx=0 buffer=1 iui=1
v_mfma_f32_16x16x4f32 a[12+0:15+0], v[vgprValuA_X0_I0+3+0+0], v[vgprValuB_X0_I0+0+0+0], a[12:15]
/*  mfmaIndex:4  */
_ds_load_b32 v[vgprValuB_X1_I1+0], v[vgprLocalReadAddrB] offset:3072 // L -> Reg lro=768 swapByteOffset=0 ti=64 vIdx=0 rIdx=0 oIdx=0 buffer=1 iui=1
_ds_load_b32 v[vgprValuA_X1_I1+1], v[vgprLocalReadAddrA] offset:3136 // L -> Reg lro=768 swapByteOffset=0 ti=16 vIdx=1 rIdx=0 oIdx=0 buffer=1 iui=1
v_mfma_f32_16x16x4f32 a[0+0:3+0], v[vgprValuA_X0_I1+0+0+0], v[vgprValuB_X0_I1+0+0+0], a[0:3]
/*  mfmaIndex:5  */
_ds_load_b32 v[vgprValuA_X1_I1+2], v[vgprLocalReadAddrA] offset:3200 // L -> Reg lro=768 swapByteOffset=0 ti=16 vIdx=2 rIdx=0 oIdx=0 buffer=1 iui=1
_ds_load_b32 v[vgprValuA_X1_I1+3], v[vgprLocalReadAddrA] offset:3264 // L -> Reg lro=768 swapByteOffset=0 ti=16 vIdx=3 rIdx=0 oIdx=0 buffer=1 iui=1
/* localReadsVacancy: latencyLeft 1 */
v_mfma_f32_16x16x4f32 a[4+0:7+0], v[vgprValuA_X0_I1+1+0+0], v[vgprValuB_X0_I1+0+0+0], a[4:7]
/*  mfmaIndex:6  */
/* localReadsVacancy: latencyLeft 5 */
v_mfma_f32_16x16x4f32 a[8+0:11+0], v[vgprValuA_X0_I1+2+0+0], v[vgprValuB_X0_I1+0+0+0], a[8:11]
/*  mfmaIndex:7  */
/* localReadsVacancy: latencyLeft 5 */
v_mfma_f32_16x16x4f32 a[12+0:15+0], v[vgprValuA_X0_I1+3+0+0], v[vgprValuB_X0_I1+0+0+0], a[12:15]
/* numPrefetchIter=0 */
/* dataAtIterA=-1 numReadsIterA=1 skipReadsIterA=1 readsPerIterA=8 */
/* dataAtIterB=-1 numReadsIterB=1 skipReadsIterB=1 readsPerIterB=2 */


/* iter 1 (last unrolled loop) */

/*  grEndMfmaIndex:0, lwStartMfmaIndex:22, lwEndMfmaIndex:22  */
/*  numMfmaForLR:6, barrierMfmaIndex:25 */
/*  mfmaIndex:8  */
_ds_load_b32 v[vgprValuA_X0_I0+0], v[vgprLocalReadAddrA] offset:4096 // L -> Reg lro=1024 swapByteOffset=0 ti=16 vIdx=0 rIdx=0 oIdx=0 buffer=0 iui=0
_ds_load_b32 v[vgprValuB_X0_I0+0], v[vgprLocalReadAddrB] offset:4096 // L -> Reg lro=1024 swapByteOffset=0 ti=64 vIdx=0 rIdx=0 oIdx=0 buffer=0 iui=0
s_waitcnt lgkmcnt(2)                               // lgkmcnt=0 vmcnt=-1wait for prior local read local write old=0, new=2 newLW=0 newLR=2
v_mfma_f32_16x16x4f32 a[0+0:3+0], v[vgprValuA_X1_I0+0+0+0], v[vgprValuB_X1_I0+0+0+0], a[0:3]
/*  mfmaIndex:9  */
_ds_load_b32 v[vgprValuA_X0_I0+1], v[vgprLocalReadAddrA] offset:4160 // L -> Reg lro=1024 swapByteOffset=0 ti=16 vIdx=1 rIdx=0 oIdx=0 buffer=0 iui=0
_ds_load_b32 v[vgprValuA_X0_I0+2], v[vgprLocalReadAddrA] offset:4224 // L -> Reg lro=1024 swapByteOffset=0 ti=16 vIdx=2 rIdx=0 oIdx=0 buffer=0 iui=0
v_mfma_f32_16x16x4f32 a[4+0:7+0], v[vgprValuA_X1_I0+1+0+0], v[vgprValuB_X1_I0+0+0+0], a[4:7]
/*  mfmaIndex:10  */
_ds_load_b32 v[vgprValuA_X0_I0+3], v[vgprLocalReadAddrA] offset:4288 // L -> Reg lro=1024 swapByteOffset=0 ti=16 vIdx=3 rIdx=0 oIdx=0 buffer=0 iui=0
_ds_load_b32 v[vgprValuA_X0_I1+0], v[vgprLocalReadAddrA] offset:5120 // L -> Reg lro=1280 swapByteOffset=0 ti=16 vIdx=0 rIdx=0 oIdx=0 buffer=0 iui=1
v_mfma_f32_16x16x4f32 a[8+0:11+0], v[vgprValuA_X1_I0+2+0+0], v[vgprValuB_X1_I0+0+0+0], a[8:11]
/*  mfmaIndex:11  */
_ds_load_b32 v[vgprValuB_X0_I1+0], v[vgprLocalReadAddrB] offset:5120 // L -> Reg lro=1280 swapByteOffset=0 ti=64 vIdx=0 rIdx=0 oIdx=0 buffer=0 iui=1
_ds_load_b32 v[vgprValuA_X0_I1+1], v[vgprLocalReadAddrA] offset:5184 // L -> Reg lro=1280 swapByteOffset=0 ti=16 vIdx=1 rIdx=0 oIdx=0 buffer=0 iui=1
v_mfma_f32_16x16x4f32 a[12+0:15+0], v[vgprValuA_X1_I0+3+0+0], v[vgprValuB_X1_I0+0+0+0], a[12:15]
/*  mfmaIndex:12  */
_ds_load_b32 v[vgprValuA_X0_I1+2], v[vgprLocalReadAddrA] offset:5248 // L -> Reg lro=1280 swapByteOffset=0 ti=16 vIdx=2 rIdx=0 oIdx=0 buffer=0 iui=1
_ds_load_b32 v[vgprValuA_X0_I1+3], v[vgprLocalReadAddrA] offset:5312 // L -> Reg lro=1280 swapByteOffset=0 ti=16 vIdx=3 rIdx=0 oIdx=0 buffer=0 iui=1
/* localReadsVacancy: latencyLeft 1 */
v_mfma_f32_16x16x4f32 a[0+0:3+0], v[vgprValuA_X1_I1+0+0+0], v[vgprValuB_X1_I1+0+0+0], a[0:3]
/*  mfmaIndex:13  */
/* localReadsVacancy: latencyLeft 5 */
v_mfma_f32_16x16x4f32 a[4+0:7+0], v[vgprValuA_X1_I1+1+0+0], v[vgprValuB_X1_I1+0+0+0], a[4:7]
/*  mfmaIndex:14  */
	;; [unrolled: 3-line block ×3, first 2 shown]
/* localReadsVacancy: latencyLeft 5 */
v_mfma_f32_16x16x4f32 a[12+0:15+0], v[vgprValuA_X1_I1+3+0+0], v[vgprValuB_X1_I1+0+0+0], a[12:15]
/* numPrefetchIter=0 */
/* dataAtIterA=0 numReadsIterA=2 skipReadsIterA=1 readsPerIterA=8 */
/* dataAtIterB=0 numReadsIterB=2 skipReadsIterB=1 readsPerIterB=2 */


/* iter 2 (last unrolled loop) */

/*  grEndMfmaIndex:0, lwStartMfmaIndex:22, lwEndMfmaIndex:22  */
/*  numMfmaForLR:6, barrierMfmaIndex:25 */
/*  mfmaIndex:16  */
_ds_load_b32 v[vgprValuA_X1_I0+0], v[vgprLocalReadAddrA] offset:6144 // L -> Reg lro=1536 swapByteOffset=0 ti=16 vIdx=0 rIdx=0 oIdx=0 buffer=1 iui=0
_ds_load_b32 v[vgprValuB_X1_I0+0], v[vgprLocalReadAddrB] offset:6144 // L -> Reg lro=1536 swapByteOffset=0 ti=64 vIdx=0 rIdx=0 oIdx=0 buffer=1 iui=0
s_waitcnt lgkmcnt(2)                               // lgkmcnt=0 vmcnt=-1wait for prior local read local write old=0, new=2 newLW=0 newLR=2
v_mfma_f32_16x16x4f32 a[0+0:3+0], v[vgprValuA_X0_I0+0+0+0], v[vgprValuB_X0_I0+0+0+0], a[0:3]
/*  mfmaIndex:17  */
_ds_load_b32 v[vgprValuA_X1_I0+1], v[vgprLocalReadAddrA] offset:6208 // L -> Reg lro=1536 swapByteOffset=0 ti=16 vIdx=1 rIdx=0 oIdx=0 buffer=1 iui=0
_ds_load_b32 v[vgprValuA_X1_I0+2], v[vgprLocalReadAddrA] offset:6272 // L -> Reg lro=1536 swapByteOffset=0 ti=16 vIdx=2 rIdx=0 oIdx=0 buffer=1 iui=0
v_mfma_f32_16x16x4f32 a[4+0:7+0], v[vgprValuA_X0_I0+1+0+0], v[vgprValuB_X0_I0+0+0+0], a[4:7]
/*  mfmaIndex:18  */
_ds_load_b32 v[vgprValuA_X1_I0+3], v[vgprLocalReadAddrA] offset:6336 // L -> Reg lro=1536 swapByteOffset=0 ti=16 vIdx=3 rIdx=0 oIdx=0 buffer=1 iui=0
_ds_load_b32 v[vgprValuA_X1_I1+0], v[vgprLocalReadAddrA] offset:7168 // L -> Reg lro=1792 swapByteOffset=0 ti=16 vIdx=0 rIdx=0 oIdx=0 buffer=1 iui=1
v_mfma_f32_16x16x4f32 a[8+0:11+0], v[vgprValuA_X0_I0+2+0+0], v[vgprValuB_X0_I0+0+0+0], a[8:11]
/*  mfmaIndex:19  */
_ds_load_b32 v[vgprValuB_X1_I1+0], v[vgprLocalReadAddrB] offset:7168 // L -> Reg lro=1792 swapByteOffset=0 ti=64 vIdx=0 rIdx=0 oIdx=0 buffer=1 iui=1
_ds_load_b32 v[vgprValuA_X1_I1+1], v[vgprLocalReadAddrA] offset:7232 // L -> Reg lro=1792 swapByteOffset=0 ti=16 vIdx=1 rIdx=0 oIdx=0 buffer=1 iui=1
v_mfma_f32_16x16x4f32 a[12+0:15+0], v[vgprValuA_X0_I0+3+0+0], v[vgprValuB_X0_I0+0+0+0], a[12:15]
/*  mfmaIndex:20  */
_ds_load_b32 v[vgprValuA_X1_I1+2], v[vgprLocalReadAddrA] offset:7296 // L -> Reg lro=1792 swapByteOffset=0 ti=16 vIdx=2 rIdx=0 oIdx=0 buffer=1 iui=1
_ds_load_b32 v[vgprValuA_X1_I1+3], v[vgprLocalReadAddrA] offset:7360 // L -> Reg lro=1792 swapByteOffset=0 ti=16 vIdx=3 rIdx=0 oIdx=0 buffer=1 iui=1
/* localReadsVacancy: latencyLeft 1 */
v_mfma_f32_16x16x4f32 a[0+0:3+0], v[vgprValuA_X0_I1+0+0+0], v[vgprValuB_X0_I1+0+0+0], a[0:3]
/*  mfmaIndex:21  */
/* localReadsVacancy: latencyLeft 5 */
v_mfma_f32_16x16x4f32 a[4+0:7+0], v[vgprValuA_X0_I1+1+0+0], v[vgprValuB_X0_I1+0+0+0], a[4:7]
/*  mfmaIndex:22  */
	;; [unrolled: 3-line block ×3, first 2 shown]
/* localReadsVacancy: latencyLeft 5 */
v_mfma_f32_16x16x4f32 a[12+0:15+0], v[vgprValuA_X0_I1+3+0+0], v[vgprValuB_X0_I1+0+0+0], a[12:15]
/* numPrefetchIter=0 */
/* dataAtIterA=1 numReadsIterA=3 skipReadsIterA=1 readsPerIterA=8 */
/* dataAtIterB=1 numReadsIterB=3 skipReadsIterB=1 readsPerIterB=2 */


/* iter 3 (last unrolled loop) */

/*  grEndMfmaIndex:0, lwStartMfmaIndex:22, lwEndMfmaIndex:22  */
/*  numMfmaForLR:6, barrierMfmaIndex:25 */
/*  mfmaIndex:24  */
s_waitcnt lgkmcnt(0)                               // lgkmcnt=0 vmcnt=-1wait for prior local read local write old=0, new=0 newLW=0 newLR=0
v_mfma_f32_16x16x4f32 a[0+0:3+0], v[vgprValuA_X1_I0+0+0+0], v[vgprValuB_X1_I0+0+0+0], a[0:3]
/*  mfmaIndex:25  */
v_mfma_f32_16x16x4f32 a[4+0:7+0], v[vgprValuA_X1_I0+1+0+0], v[vgprValuB_X1_I0+0+0+0], a[4:7]
/*  mfmaIndex:26  */
	;; [unrolled: 2-line block ×4, first 2 shown]
v_mfma_f32_16x16x4f32 a[0+0:3+0], v[vgprValuA_X1_I1+0+0+0], v[vgprValuB_X1_I1+0+0+0], a[0:3]
/*  mfmaIndex:29  */
v_mfma_f32_16x16x4f32 a[4+0:7+0], v[vgprValuA_X1_I1+1+0+0], v[vgprValuB_X1_I1+0+0+0], a[4:7]
/*  mfmaIndex:30  */
	;; [unrolled: 2-line block ×3, first 2 shown]
v_mfma_f32_16x16x4f32 a[12+0:15+0], v[vgprValuA_X1_I1+3+0+0], v[vgprValuB_X1_I1+0+0+0], a[12:15]
/* numPrefetchIter=0 */
/* dataAtIterA=2 numReadsIterA=3 skipReadsIterA=0 readsPerIterA=8 */
/* dataAtIterB=2 numReadsIterB=3 skipReadsIterB=0 readsPerIterB=2 */

/* Stores for OptNLL */
Summation_End_OptNLL_16:
/* endSummation: add vgpr [0...42) to pool */

/* Mapping of Acc register -> C Vgpr register */
/* computeStoreVgprs */
v_lshrrev_b32 v4, 6, v[vgprSerial]                 // v4 = v[vgprSerial] / 64
v_lshrrev_b32 v1, 0, v4                            // v1 = v4 / 1
v_mul_lo_u32 v1, 0x10, v1                          // wave coordination offset 1
v_and_b32 v5, 15, v[vgprSerial]                    // v5 = v[vgprSerial] % 16
_v_add_lshl_u32 v1, v5, v1, 0                      // coordination 1 = vwb *(wave_id1 + tid1)
v_mul_lo_u32 v2, v1, s[sgprStrideC1J]              //  offset 1
v_mul_lo_u32 v3, v1, s[sgprStrideD1J]              //  offset 1
v_and_b32 v0, 63, v[vgprSerial]                    // v0 = v[vgprSerial] % 64
v_lshrrev_b32 v0, 4, v0                            // v0 = v0 / 16
v_lshlrev_b32 v0, 0x2, v0                          // thread0 * continuous_output
v_and_b32 v5, 0, v4                                // v5 = v4 % 1
v_mul_lo_u32 v5, 0x10, v5                          // wave coordination offset 0
_v_add_lshl_u32 v0, v5, v0, 0                      // coordination 0 = vwa *(wave_id0 + tid0)
s_mul_i32 s53, 64, s[sgprWorkGroup0]               // wgp0 * MT0
_v_add_u32 v0, s53, v0                             // coord 0 = (tid0/MI_m)*4 + waveG0*MIB_m + MT0*SG0
s_mul_i32 s53, 64, s[sgprWorkGroup1]               // wgp1 * MT1
_v_add_u32 v1, s53, v1                             // coord 1 = (tid0%MI_m) + waveG1*MIB_n + MT1*SG1
/* Store Remap Local Write address */
v_lshrrev_b32 v5, 6, v[vgprSerial]                 // v5 = v[vgprSerial] / 64
v_and_b32 v4, 63, v[vgprSerial]                    // v4 = v[vgprSerial] % 64
v_mul_lo_u32 v13, 0x10, v5                         // coord1 offset of LDS for each Wave
v_and_b32 v5, 0xf, v[vgprSerial]                   // coord1 offset of LDS for each thread
_v_add_u32 v5, v13, v5                             // coord1 offset in MacroTile
v_mov_b32 v11, 0x44                                // lds stride = MT0 + PAD
v_mul_lo_u32 v9, v5, v11                           // lds coord1 offset = Col-id* lds stride
v_lshrrev_b32 v10, 6, v4                           // v10 = v4 / 64
v_and_b32 v4, 63, v4                               // v4 = v4 % 64
v_lshrrev_b32 v12, 0x4, v4                         // tid / matrixInstN
v_lshlrev_b32 v12, 0x2, v12                        // lds coord0 offset *= 4 (each thread hold 4 element)
v_mad_u32_u24 v12, 16, v10, v12                    // coord0 += waveCoord0 * wave M shape(blockM*MiM)
_v_add_lshl_u32 v7, v9, v12, 0x2                   // local write C address

/* Store Remap Local Read address */
v_lshrrev_b32 v5, 6, v[vgprSerial]                 // v5 = v[vgprSerial] / 64
v_and_b32 v4, 63, v[vgprSerial]                    // v4 = v[vgprSerial] % 64
v_mul_lo_u32 v13, 0x10, v5                         // coord1 offset of LDS for each Wave
v_lshrrev_b32 v10, 0x4, v4                         // tid / nThreadPerCol
_v_add_u32 v6, v13, v10                            // coord1 offset in MacroTile
v_mul_lo_u32 v9, v6, v11                           // lds coord1 offset = Col-id* lds stride
v_and_b32 v12, 0xf, v4                             // coord0 offset of LDS for each thread
v_lshlrev_b32 v12, 0x2, v12                        // lds coord0 offset *= gwvw (each thread hold gwvw element)
_v_add_lshl_u32 v8, v9, v12, 0x2                   // local read C address

/* Store Remap global write coord0 and coord1 */
v_lshrrev_b32 v5, 6, v[vgprSerial]                 // v5 = v[vgprSerial] / 64
v_and_b32 v4, 63, v[vgprSerial]                    // v4 = v[vgprSerial] % 64
v_mul_lo_u32 v13, 0x10, v5                         // coord1 offset of global memory for each Wave
v_lshrrev_b32 v5, 6, v4                            // v5 = v4 / 64
v_and_b32 v4, 63, v4                               // v4 = v4 % 64
v_mad_u32_u24 v13, 16, v5, v13                     // waveCoord1 += waveCoord0 * MiN / WaveGroupM
v_lshrrev_b32 v10, 0x4, v4                         // tid / nThreadPerCol
_v_add_u32 v6, v13, v10                            // coord1 offset in MacroTile
s_mul_i32 s54, 0x40, s[sgprWorkGroup0]             // s54 = wg0*MT0
_v_add_co_u32 v4, vcc, s54, v12                    // coord0 = coord0 + wg0 * MT0
s_mul_i32 s55, MT1, s[sgprWorkGroup1]              // <- wg1*MT1
_v_add_co_u32 v5, vcc, s55, v6                     // coord1 = tid1*VW + wg1*MT1

s_waitcnt lgkmcnt(0) & vmcnt(0)                    // force waitcnt0
s_barrier //StoreRemap Start
GW_B0_E0_19:

/* edge=0, allocate 2 sgpr. perBatchTmpS=2 perBatchMaskS=0 perElementMaskS=0 elementsPerBatch=4 */
/* optSingleColVgpr=1 optSharedColVgpr=0 optSGPRUsage=BufferLoad_Mask optSrdIncForRow=1 */

/******************************************/
/* Global Write Batch #0 (d1,d0,vc1,vc0) = */
/*    (0,0,0,0:vw4); (0,1,0,0:vw4); (0,2,0,0:vw4); (0,3,0,0:vw4) */
/******************************************/

/* calc coords, apply mask, and issue loads (if necessary) */
/* (d1,vc1,d0,vc0)=(0,0,0,0) */
/* (d1,vc1,d0,vc0)=(0,0,1,0) */
/* (d1,vc1,d0,vc0)=(0,0,2,0) */
/* (d1,vc1,d0,vc0)=(0,0,3,0) */
_v_add_lshl_u32 v9, v3, v0, 0x2                    // optSingleColVgpr scaleToBpe: sharedAddrVgpr <- cinRowPtr + coord0, scaled by BPE. BSHERE:coord0=0, coord0Vgpr=0
v_accvgpr_read_b32 v[vgprValuC+16], acc0 // copy acc to vreg[0]
v_accvgpr_read_b32 v[vgprValuC+17], acc1 // copy acc to vreg[1]
v_accvgpr_read_b32 v[vgprValuC+18], acc2 // copy acc to vreg[2]
v_accvgpr_read_b32 v[vgprValuC+19], acc3 // copy acc to vreg[3]
v_accvgpr_read_b32 v[vgprValuC+20], acc4 // copy acc to vreg[4]
v_accvgpr_read_b32 v[vgprValuC+21], acc5 // copy acc to vreg[5]
v_accvgpr_read_b32 v[vgprValuC+22], acc6 // copy acc to vreg[6]
v_accvgpr_read_b32 v[vgprValuC+23], acc7 // copy acc to vreg[7]
v_accvgpr_read_b32 v[vgprValuC+24], acc8 // copy acc to vreg[8]
v_accvgpr_read_b32 v[vgprValuC+25], acc9 // copy acc to vreg[9]
v_accvgpr_read_b32 v[vgprValuC+26], acc10 // copy acc to vreg[10]
v_accvgpr_read_b32 v[vgprValuC+27], acc11 // copy acc to vreg[11]
v_accvgpr_read_b32 v[vgprValuC+28], acc12 // copy acc to vreg[12]
v_accvgpr_read_b32 v[vgprValuC+29], acc13 // copy acc to vreg[13]
v_accvgpr_read_b32 v[vgprValuC+30], acc14 // copy acc to vreg[14]
v_accvgpr_read_b32 v[vgprValuC+31], acc15 // copy acc to vreg[15]
s_nop 1                                            // 2 wait states required before reading vgpr

/* apply mask, calc new C and issue writes */
_ds_store_b128 v7, v[16:19], offset:0              // storeRemap lw
_ds_store_b128 v7, v[20:23], offset:64             // storeRemap lw
_ds_store_b128 v7, v[24:27], offset:128            // storeRemap lw
_ds_store_b128 v7, v[28:31], offset:192            // storeRemap lw

/* Handle local read and global write */
s_waitcnt lgkmcnt(0)                               // wait for LDS write

_ds_load_b128 v[16:19], v8, offset:0               // storeRemap lr
_ds_load_b128 v[20:23], v8, offset:1088            // storeRemap lr
_ds_load_b128 v[24:27], v8, offset:2176            // storeRemap lr
	;; [unrolled: 1-line block ×3, first 2 shown]

v_mov_b32 v13, v6                                  // coord1
v_mul_lo_u32 v13, v13, s[sgprStrideD1J]            // coord1 offset =  coord1 * StrideD
_v_add_lshl_u32 v13, v13, v4, 0x2                  // global write D address
s_waitcnt lgkmcnt(3)                               // wait for LDS read
_buffer_store_b128 v[16:19], v13, s[sgprSrdD:sgprSrdD+3], 0, offen, offset:0 // store D
_v_add_u32 v13, v6, 4                              // coord1 += nColPerLoad
v_mul_lo_u32 v13, v13, s[sgprStrideD1J]            // coord1 offset =  coord1 * StrideD
_v_add_lshl_u32 v13, v13, v4, 0x2                  // global write D address
s_waitcnt lgkmcnt(2)                               // wait for LDS read
_buffer_store_b128 v[20:23], v13, s[sgprSrdD:sgprSrdD+3], 0, offen, offset:0 // store D
_v_add_u32 v13, v6, 8                              // coord1 += nColPerLoad
v_mul_lo_u32 v13, v13, s[sgprStrideD1J]            // coord1 offset =  coord1 * StrideD
_v_add_lshl_u32 v13, v13, v4, 0x2                  // global write D address
s_waitcnt lgkmcnt(1)                               // wait for LDS read
_buffer_store_b128 v[24:27], v13, s[sgprSrdD:sgprSrdD+3], 0, offen, offset:0 // store D
_v_add_u32 v13, v6, 12                             // coord1 += nColPerLoad
v_mul_lo_u32 v13, v13, s[sgprStrideD1J]            // coord1 offset =  coord1 * StrideD
_v_add_lshl_u32 v13, v13, v4, 0x2                  // global write D address
s_waitcnt lgkmcnt(0)                               // wait for LDS read
_buffer_store_b128 v[28:31], v13, s[sgprSrdD:sgprSrdD+3], 0, offen, offset:0 // store D

s_nop 0                                            // 1 wait state required when next inst writes vgprs held by previous dwordx4 store inst
s_branch label_GW_End_21                           // jump to end
label_GW_End_21:

s_endpgm                                           // Kernel End
OptNLL_End_15:


/******************************************/
/* Ord. NoLoadLoop - Begin                                      */
/******************************************/


	;; [unrolled: 1-line block ×4, first 2 shown]
/* iter 0 (last unrolled loop) */

/*  grEndMfmaIndex:0, lwStartMfmaIndex:22, lwEndMfmaIndex:22  */
/*  numMfmaForLR:6, barrierMfmaIndex:25 */
/*  mfmaIndex:0  */
s_waitcnt lgkmcnt(0)                               // lgkmcnt=0 vmcnt=-1wait for prior local read local write old=0, new=0 newLW=0 newLR=0
v_mfma_f32_16x16x4f32 a[0+0:3+0], v[vgprValuA_X0_I0+0+0+0], v[vgprValuB_X0_I0+0+0+0], a[0:3]
/*  mfmaIndex:1  */
_ds_load_b32 v[vgprValuA_X1_I0+0], v[vgprLocalReadAddrA] offset:2048 // L -> Reg lro=512 swapByteOffset=0 ti=16 vIdx=0 rIdx=0 oIdx=0 buffer=1 iui=0
_ds_load_b32 v[vgprValuB_X1_I0+0], v[vgprLocalReadAddrB] offset:2048 // L -> Reg lro=512 swapByteOffset=0 ti=64 vIdx=0 rIdx=0 oIdx=0 buffer=1 iui=0
v_mfma_f32_16x16x4f32 a[4+0:7+0], v[vgprValuA_X0_I0+1+0+0], v[vgprValuB_X0_I0+0+0+0], a[4:7]
/*  mfmaIndex:2  */
_ds_load_b32 v[vgprValuA_X1_I0+1], v[vgprLocalReadAddrA] offset:2112 // L -> Reg lro=512 swapByteOffset=0 ti=16 vIdx=1 rIdx=0 oIdx=0 buffer=1 iui=0
_ds_load_b32 v[vgprValuA_X1_I0+2], v[vgprLocalReadAddrA] offset:2176 // L -> Reg lro=512 swapByteOffset=0 ti=16 vIdx=2 rIdx=0 oIdx=0 buffer=1 iui=0
v_mfma_f32_16x16x4f32 a[8+0:11+0], v[vgprValuA_X0_I0+2+0+0], v[vgprValuB_X0_I0+0+0+0], a[8:11]
/*  mfmaIndex:3  */
_ds_load_b32 v[vgprValuA_X1_I0+3], v[vgprLocalReadAddrA] offset:2240 // L -> Reg lro=512 swapByteOffset=0 ti=16 vIdx=3 rIdx=0 oIdx=0 buffer=1 iui=0
_ds_load_b32 v[vgprValuA_X1_I1+0], v[vgprLocalReadAddrA] offset:3072 // L -> Reg lro=768 swapByteOffset=0 ti=16 vIdx=0 rIdx=0 oIdx=0 buffer=1 iui=1
v_mfma_f32_16x16x4f32 a[12+0:15+0], v[vgprValuA_X0_I0+3+0+0], v[vgprValuB_X0_I0+0+0+0], a[12:15]
/*  mfmaIndex:4  */
_ds_load_b32 v[vgprValuB_X1_I1+0], v[vgprLocalReadAddrB] offset:3072 // L -> Reg lro=768 swapByteOffset=0 ti=64 vIdx=0 rIdx=0 oIdx=0 buffer=1 iui=1
_ds_load_b32 v[vgprValuA_X1_I1+1], v[vgprLocalReadAddrA] offset:3136 // L -> Reg lro=768 swapByteOffset=0 ti=16 vIdx=1 rIdx=0 oIdx=0 buffer=1 iui=1
v_mfma_f32_16x16x4f32 a[0+0:3+0], v[vgprValuA_X0_I1+0+0+0], v[vgprValuB_X0_I1+0+0+0], a[0:3]
/*  mfmaIndex:5  */
_ds_load_b32 v[vgprValuA_X1_I1+2], v[vgprLocalReadAddrA] offset:3200 // L -> Reg lro=768 swapByteOffset=0 ti=16 vIdx=2 rIdx=0 oIdx=0 buffer=1 iui=1
_ds_load_b32 v[vgprValuA_X1_I1+3], v[vgprLocalReadAddrA] offset:3264 // L -> Reg lro=768 swapByteOffset=0 ti=16 vIdx=3 rIdx=0 oIdx=0 buffer=1 iui=1
/* localReadsVacancy: latencyLeft 1 */
v_mfma_f32_16x16x4f32 a[4+0:7+0], v[vgprValuA_X0_I1+1+0+0], v[vgprValuB_X0_I1+0+0+0], a[4:7]
/*  mfmaIndex:6  */
/* localReadsVacancy: latencyLeft 5 */
v_mfma_f32_16x16x4f32 a[8+0:11+0], v[vgprValuA_X0_I1+2+0+0], v[vgprValuB_X0_I1+0+0+0], a[8:11]
/*  mfmaIndex:7  */
/* localReadsVacancy: latencyLeft 5 */
v_mfma_f32_16x16x4f32 a[12+0:15+0], v[vgprValuA_X0_I1+3+0+0], v[vgprValuB_X0_I1+0+0+0], a[12:15]
/* numPrefetchIter=0 */
/* dataAtIterA=-1 numReadsIterA=1 skipReadsIterA=1 readsPerIterA=8 */
/* dataAtIterB=-1 numReadsIterB=1 skipReadsIterB=1 readsPerIterB=2 */


/* iter 1 (last unrolled loop) */

/*  grEndMfmaIndex:0, lwStartMfmaIndex:22, lwEndMfmaIndex:22  */
/*  numMfmaForLR:6, barrierMfmaIndex:25 */
/*  mfmaIndex:8  */
_ds_load_b32 v[vgprValuA_X0_I0+0], v[vgprLocalReadAddrA] offset:4096 // L -> Reg lro=1024 swapByteOffset=0 ti=16 vIdx=0 rIdx=0 oIdx=0 buffer=0 iui=0
_ds_load_b32 v[vgprValuB_X0_I0+0], v[vgprLocalReadAddrB] offset:4096 // L -> Reg lro=1024 swapByteOffset=0 ti=64 vIdx=0 rIdx=0 oIdx=0 buffer=0 iui=0
s_waitcnt lgkmcnt(2)                               // lgkmcnt=0 vmcnt=-1wait for prior local read local write old=0, new=2 newLW=0 newLR=2
v_mfma_f32_16x16x4f32 a[0+0:3+0], v[vgprValuA_X1_I0+0+0+0], v[vgprValuB_X1_I0+0+0+0], a[0:3]
/*  mfmaIndex:9  */
_ds_load_b32 v[vgprValuA_X0_I0+1], v[vgprLocalReadAddrA] offset:4160 // L -> Reg lro=1024 swapByteOffset=0 ti=16 vIdx=1 rIdx=0 oIdx=0 buffer=0 iui=0
_ds_load_b32 v[vgprValuA_X0_I0+2], v[vgprLocalReadAddrA] offset:4224 // L -> Reg lro=1024 swapByteOffset=0 ti=16 vIdx=2 rIdx=0 oIdx=0 buffer=0 iui=0
v_mfma_f32_16x16x4f32 a[4+0:7+0], v[vgprValuA_X1_I0+1+0+0], v[vgprValuB_X1_I0+0+0+0], a[4:7]
/*  mfmaIndex:10  */
_ds_load_b32 v[vgprValuA_X0_I0+3], v[vgprLocalReadAddrA] offset:4288 // L -> Reg lro=1024 swapByteOffset=0 ti=16 vIdx=3 rIdx=0 oIdx=0 buffer=0 iui=0
_ds_load_b32 v[vgprValuA_X0_I1+0], v[vgprLocalReadAddrA] offset:5120 // L -> Reg lro=1280 swapByteOffset=0 ti=16 vIdx=0 rIdx=0 oIdx=0 buffer=0 iui=1
v_mfma_f32_16x16x4f32 a[8+0:11+0], v[vgprValuA_X1_I0+2+0+0], v[vgprValuB_X1_I0+0+0+0], a[8:11]
/*  mfmaIndex:11  */
_ds_load_b32 v[vgprValuB_X0_I1+0], v[vgprLocalReadAddrB] offset:5120 // L -> Reg lro=1280 swapByteOffset=0 ti=64 vIdx=0 rIdx=0 oIdx=0 buffer=0 iui=1
_ds_load_b32 v[vgprValuA_X0_I1+1], v[vgprLocalReadAddrA] offset:5184 // L -> Reg lro=1280 swapByteOffset=0 ti=16 vIdx=1 rIdx=0 oIdx=0 buffer=0 iui=1
v_mfma_f32_16x16x4f32 a[12+0:15+0], v[vgprValuA_X1_I0+3+0+0], v[vgprValuB_X1_I0+0+0+0], a[12:15]
/*  mfmaIndex:12  */
_ds_load_b32 v[vgprValuA_X0_I1+2], v[vgprLocalReadAddrA] offset:5248 // L -> Reg lro=1280 swapByteOffset=0 ti=16 vIdx=2 rIdx=0 oIdx=0 buffer=0 iui=1
_ds_load_b32 v[vgprValuA_X0_I1+3], v[vgprLocalReadAddrA] offset:5312 // L -> Reg lro=1280 swapByteOffset=0 ti=16 vIdx=3 rIdx=0 oIdx=0 buffer=0 iui=1
/* localReadsVacancy: latencyLeft 1 */
v_mfma_f32_16x16x4f32 a[0+0:3+0], v[vgprValuA_X1_I1+0+0+0], v[vgprValuB_X1_I1+0+0+0], a[0:3]
/*  mfmaIndex:13  */
/* localReadsVacancy: latencyLeft 5 */
v_mfma_f32_16x16x4f32 a[4+0:7+0], v[vgprValuA_X1_I1+1+0+0], v[vgprValuB_X1_I1+0+0+0], a[4:7]
/*  mfmaIndex:14  */
	;; [unrolled: 3-line block ×3, first 2 shown]
/* localReadsVacancy: latencyLeft 5 */
v_mfma_f32_16x16x4f32 a[12+0:15+0], v[vgprValuA_X1_I1+3+0+0], v[vgprValuB_X1_I1+0+0+0], a[12:15]
/* numPrefetchIter=0 */
/* dataAtIterA=0 numReadsIterA=2 skipReadsIterA=1 readsPerIterA=8 */
/* dataAtIterB=0 numReadsIterB=2 skipReadsIterB=1 readsPerIterB=2 */


/* iter 2 (last unrolled loop) */

/*  grEndMfmaIndex:0, lwStartMfmaIndex:22, lwEndMfmaIndex:22  */
/*  numMfmaForLR:6, barrierMfmaIndex:25 */
/*  mfmaIndex:16  */
_ds_load_b32 v[vgprValuA_X1_I0+0], v[vgprLocalReadAddrA] offset:6144 // L -> Reg lro=1536 swapByteOffset=0 ti=16 vIdx=0 rIdx=0 oIdx=0 buffer=1 iui=0
_ds_load_b32 v[vgprValuB_X1_I0+0], v[vgprLocalReadAddrB] offset:6144 // L -> Reg lro=1536 swapByteOffset=0 ti=64 vIdx=0 rIdx=0 oIdx=0 buffer=1 iui=0
s_waitcnt lgkmcnt(2)                               // lgkmcnt=0 vmcnt=-1wait for prior local read local write old=0, new=2 newLW=0 newLR=2
v_mfma_f32_16x16x4f32 a[0+0:3+0], v[vgprValuA_X0_I0+0+0+0], v[vgprValuB_X0_I0+0+0+0], a[0:3]
/*  mfmaIndex:17  */
_ds_load_b32 v[vgprValuA_X1_I0+1], v[vgprLocalReadAddrA] offset:6208 // L -> Reg lro=1536 swapByteOffset=0 ti=16 vIdx=1 rIdx=0 oIdx=0 buffer=1 iui=0
_ds_load_b32 v[vgprValuA_X1_I0+2], v[vgprLocalReadAddrA] offset:6272 // L -> Reg lro=1536 swapByteOffset=0 ti=16 vIdx=2 rIdx=0 oIdx=0 buffer=1 iui=0
v_mfma_f32_16x16x4f32 a[4+0:7+0], v[vgprValuA_X0_I0+1+0+0], v[vgprValuB_X0_I0+0+0+0], a[4:7]
/*  mfmaIndex:18  */
_ds_load_b32 v[vgprValuA_X1_I0+3], v[vgprLocalReadAddrA] offset:6336 // L -> Reg lro=1536 swapByteOffset=0 ti=16 vIdx=3 rIdx=0 oIdx=0 buffer=1 iui=0
_ds_load_b32 v[vgprValuA_X1_I1+0], v[vgprLocalReadAddrA] offset:7168 // L -> Reg lro=1792 swapByteOffset=0 ti=16 vIdx=0 rIdx=0 oIdx=0 buffer=1 iui=1
v_mfma_f32_16x16x4f32 a[8+0:11+0], v[vgprValuA_X0_I0+2+0+0], v[vgprValuB_X0_I0+0+0+0], a[8:11]
/*  mfmaIndex:19  */
_ds_load_b32 v[vgprValuB_X1_I1+0], v[vgprLocalReadAddrB] offset:7168 // L -> Reg lro=1792 swapByteOffset=0 ti=64 vIdx=0 rIdx=0 oIdx=0 buffer=1 iui=1
_ds_load_b32 v[vgprValuA_X1_I1+1], v[vgprLocalReadAddrA] offset:7232 // L -> Reg lro=1792 swapByteOffset=0 ti=16 vIdx=1 rIdx=0 oIdx=0 buffer=1 iui=1
v_mfma_f32_16x16x4f32 a[12+0:15+0], v[vgprValuA_X0_I0+3+0+0], v[vgprValuB_X0_I0+0+0+0], a[12:15]
/*  mfmaIndex:20  */
_ds_load_b32 v[vgprValuA_X1_I1+2], v[vgprLocalReadAddrA] offset:7296 // L -> Reg lro=1792 swapByteOffset=0 ti=16 vIdx=2 rIdx=0 oIdx=0 buffer=1 iui=1
_ds_load_b32 v[vgprValuA_X1_I1+3], v[vgprLocalReadAddrA] offset:7360 // L -> Reg lro=1792 swapByteOffset=0 ti=16 vIdx=3 rIdx=0 oIdx=0 buffer=1 iui=1
/* localReadsVacancy: latencyLeft 1 */
v_mfma_f32_16x16x4f32 a[0+0:3+0], v[vgprValuA_X0_I1+0+0+0], v[vgprValuB_X0_I1+0+0+0], a[0:3]
/*  mfmaIndex:21  */
/* localReadsVacancy: latencyLeft 5 */
v_mfma_f32_16x16x4f32 a[4+0:7+0], v[vgprValuA_X0_I1+1+0+0], v[vgprValuB_X0_I1+0+0+0], a[4:7]
/*  mfmaIndex:22  */
/* localReadsVacancy: latencyLeft 5 */
v_mfma_f32_16x16x4f32 a[8+0:11+0], v[vgprValuA_X0_I1+2+0+0], v[vgprValuB_X0_I1+0+0+0], a[8:11]
/*  mfmaIndex:23  */
/* localReadsVacancy: latencyLeft 5 */
v_mfma_f32_16x16x4f32 a[12+0:15+0], v[vgprValuA_X0_I1+3+0+0], v[vgprValuB_X0_I1+0+0+0], a[12:15]
/* numPrefetchIter=0 */
/* dataAtIterA=1 numReadsIterA=3 skipReadsIterA=1 readsPerIterA=8 */
/* dataAtIterB=1 numReadsIterB=3 skipReadsIterB=1 readsPerIterB=2 */


/* iter 3 (last unrolled loop) */

/*  grEndMfmaIndex:0, lwStartMfmaIndex:22, lwEndMfmaIndex:22  */
/*  numMfmaForLR:6, barrierMfmaIndex:25 */
/*  mfmaIndex:24  */
s_waitcnt lgkmcnt(0)                               // lgkmcnt=0 vmcnt=-1wait for prior local read local write old=0, new=0 newLW=0 newLR=0
v_mfma_f32_16x16x4f32 a[0+0:3+0], v[vgprValuA_X1_I0+0+0+0], v[vgprValuB_X1_I0+0+0+0], a[0:3]
/*  mfmaIndex:25  */
v_mfma_f32_16x16x4f32 a[4+0:7+0], v[vgprValuA_X1_I0+1+0+0], v[vgprValuB_X1_I0+0+0+0], a[4:7]
/*  mfmaIndex:26  */
v_mfma_f32_16x16x4f32 a[8+0:11+0], v[vgprValuA_X1_I0+2+0+0], v[vgprValuB_X1_I0+0+0+0], a[8:11]
/*  mfmaIndex:27  */
v_mfma_f32_16x16x4f32 a[12+0:15+0], v[vgprValuA_X1_I0+3+0+0], v[vgprValuB_X1_I0+0+0+0], a[12:15]
/*  mfmaIndex:28  */
v_mfma_f32_16x16x4f32 a[0+0:3+0], v[vgprValuA_X1_I1+0+0+0], v[vgprValuB_X1_I1+0+0+0], a[0:3]
/*  mfmaIndex:29  */
v_mfma_f32_16x16x4f32 a[4+0:7+0], v[vgprValuA_X1_I1+1+0+0], v[vgprValuB_X1_I1+0+0+0], a[4:7]
/*  mfmaIndex:30  */
	;; [unrolled: 2-line block ×3, first 2 shown]
v_mfma_f32_16x16x4f32 a[12+0:15+0], v[vgprValuA_X1_I1+3+0+0], v[vgprValuB_X1_I1+0+0+0], a[12:15]
/* numPrefetchIter=0 */
/* dataAtIterA=2 numReadsIterA=3 skipReadsIterA=0 readsPerIterA=8 */
/* dataAtIterB=2 numReadsIterB=3 skipReadsIterB=0 readsPerIterB=2 */

PrefetchGlobalLastIterEnd_5:


/******************************************/
/* Tail Loop                              */
/******************************************/


/* local write reset offsets a */


v_and_b32 v[vgprLocalWriteAddrA], 0xf03fff, v[vgprLocalWriteAddrA] // reset to Red


/* local write reset offsets b */


v_and_b32 v[vgprLocalWriteAddrB], 0xf03fff, v[vgprLocalWriteAddrB] // reset to Red


//numIterL = (((sizeL % LOCAL_DEPTHU) + LOCAL_SPLITU - 1) / LOCAL_SPLITU)
s_and_b32 s[sgprLoopCounterL], 31, s[sgprSizesSum+0] // s[sgprLoopCounterL] = s[sgprSizesSum+0] % 32
s_cmp_eq_u32 s[sgprLoopCounterL], 0x0              // numIterL == 0
s_cbranch_scc1 SkipTailLoopL_8                     // skip to end of tail loop b/c numIter==0
s_mov_b32 s[sgprOrigLoopCounter], 0                // repurpose to count each localRead increment


/* remove stagger offsets for tail loop */

s_mov_b32 s56, 3                                   // 
s_mul_hi_u32 s55, s56, s[sgprGlobalReadIncsA+0]    // 3 * GlobalReadIncs
s_mul_i32 s54, s56, s[sgprGlobalReadIncsA+0]       // 3 * GlobalReadIncs
s_mul_hi_u32 s57, s[sgprStaggerUIter], s[sgprGlobalReadIncsA+0] // StaggerUIter * GlobalReadIncs
s_mul_i32 s56, s[sgprStaggerUIter], s[sgprGlobalReadIncsA+0] // StaggerUIter * GlobalReadIncs
s_sub_u32 s54, s54, s56                            // start offset S in bytes
s_subb_u32 s55, s55, s57                           // start offset S in bytes
s_sub_u32 s54, s54, s[sgprWrapUA]                  // S - WrapU
s_subb_u32 s55, s55, s[sgprWrapUA+1]               // S - WrapU
s_add_u32 s[sgprSrdA+0], s[sgprSrdA+0], s54        // gra SRD += inc(lower)
s_addc_u32  s[sgprSrdA+1], s[sgprSrdA+1], s55      // gra SRD += inc(upper)
s_sub_u32 s[sgprShadowLimitA+0], s[sgprShadowLimitA+0], s54 // limit -= inc)
s_subb_u32 s[sgprShadowLimitA+1], s[sgprShadowLimitA+1], s55 // limit -= inc)
s_cmp_eq_u32 s[sgprShadowLimitA+1], 0              // are we within 2^32?
s_cselect_b32 s[sgprSrdA+2], s[sgprShadowLimitA+0], BufferLimitA // Move shadow to real if we are within 2^32

s_mov_b32 s56, 3                                   // 
s_mul_hi_u32 s55, s56, s[sgprGlobalReadIncsB+0]    // 3 * GlobalReadIncs
s_mul_i32 s54, s56, s[sgprGlobalReadIncsB+0]       // 3 * GlobalReadIncs
s_mul_hi_u32 s57, s[sgprStaggerUIter], s[sgprGlobalReadIncsB+0] // StaggerUIter * GlobalReadIncs
s_mul_i32 s56, s[sgprStaggerUIter], s[sgprGlobalReadIncsB+0] // StaggerUIter * GlobalReadIncs
s_sub_u32 s54, s54, s56                            // start offset S in bytes
s_subb_u32 s55, s55, s57                           // start offset S in bytes
s_sub_u32 s54, s54, s[sgprWrapUB]                  // S - WrapU
s_subb_u32 s55, s55, s[sgprWrapUB+1]               // S - WrapU
s_add_u32 s[sgprSrdB+0], s[sgprSrdB+0], s54        // gra SRD += inc(lower)
s_addc_u32  s[sgprSrdB+1], s[sgprSrdB+1], s55      // gra SRD += inc(upper)
s_sub_u32 s[sgprShadowLimitB+0], s[sgprShadowLimitB+0], s54 // limit -= inc)
s_subb_u32 s[sgprShadowLimitB+1], s[sgprShadowLimitB+1], s55 // limit -= inc)
s_cmp_eq_u32 s[sgprShadowLimitB+1], 0              // are we within 2^32?
s_cselect_b32 s[sgprSrdB+2], s[sgprShadowLimitB+0], BufferLimitB // Move shadow to real if we are within 2^32


/* Update M0 for DTLDS */


	;; [unrolled: 1-line block ×3, first 2 shown]
/* global read a */

/* g2l=0, load component 0 */
_buffer_load_b128 v[vgprG2LA+0+0:vgprG2LA+0+0+3], v[vgprGlobalReadOffsetA+0], s[sgprSrdA:sgprSrdA+3], 0, offen offset:0 // load packed 4X buffer value
/* g2l=4, load component 0 */
_buffer_load_b128 v[vgprG2LA+4+0:vgprG2LA+4+0+3], v[vgprGlobalReadOffsetA+1], s[sgprSrdA:sgprSrdA+3], 0, offen offset:0 // load packed 4X buffer value


/* Update M0 for DTLDS */


	;; [unrolled: 1-line block ×3, first 2 shown]
/* global read b */

/* g2l=0, load component 0 */
_buffer_load_b32 v[vgprG2LB+0+0], v[vgprGlobalReadOffsetB+0], s[sgprSrdB:sgprSrdB+3], 0, offen offset:0 // load one buffer value
/* g2l=0, load component 1 */
_buffer_load_b32 v[vgprG2LB+0+1], v[vgprGlobalReadOffsetB+0], s[sgprSrdB:sgprSrdB+3], 0, offen offset:4 // load one buffer value
	;; [unrolled: 2-line block ×8, first 2 shown]

s_waitcnt vmcnt(0)                                 // lgkmcnt=-1 vmcnt=02wait for global read

s_waitcnt lgkmcnt(0) & vmcnt(0)                    // force waitcnt0
s_barrier //


/* Done global A/B reads */


	;; [unrolled: 1-line block ×4, first 2 shown]
/* local write a */

_ds_store_b128 v[vgprLocalWriteAddrA], v[vgprG2LA+0:vgprG2LA+0+3] offset:0 // lwoA_0_0_0_0 = (0*LSCA) + (0*LSPA)(*MT0I+PAD) = 0
_ds_store_b128 v[vgprLocalWriteAddrA], v[vgprG2LA+4:vgprG2LA+4+3] offset:4096 // lwoA_0_0_1_0 = (0*LSCA) + (1*LSPA)(*MT0I+PAD) = 4096


/* local write b */

_ds_store_b128 v[vgprLocalWriteAddrB], v[vgprG2LB+0:vgprG2LB+0+3] offset:0 // lwoB_0_0_0_0 = (0*LSCB) + (0*LSPB)(*MT1J+PAD) = 0
_ds_store_b128 v[vgprLocalWriteAddrB], v[vgprG2LB+4:vgprG2LB+4+3] offset:4096 // lwoB_0_0_1_0 = (0*LSCB) + (1*LSPB)(*MT1J+PAD) = 4096


/* Recalc local read offsets */


s_waitcnt lgkmcnt(0)                               // lgkmcnt=0 vmcnt=-15wait for local write

s_waitcnt lgkmcnt(0) & vmcnt(0)                    // force waitcnt0
s_barrier //


/* local read reset offsets a */


/* localReadResetOffsets */
/* handled internally */
v_and_b32 v[vgprLocalReadAddrA], 0x3fff, v[vgprLocalReadAddrA] // reset Red,Blk -> Red


/* local read reset offsets b */


/* localReadResetOffsets */
/* handled internally */
v_and_b32 v[vgprLocalReadAddrB], 0x3fff, v[vgprLocalReadAddrB] // reset Red,Blk -> Red


/* local read init pointers a */


/* localReadInitPointers */


/* local read init pointers b */


/* localReadInitPointers */


/* tail loop: macs */

TailLoopBeginL_6:


/* local read a */

_ds_load_b32 v[vgprValuA_X0_I0+0], v[vgprLocalReadAddrA] offset:0 // L -> Reg lro=0 swapByteOffset=0 ti=16 vIdx=0 rIdx=0 oIdx=0 buffer=0 iui=0
_ds_load_b32 v[vgprValuA_X0_I0+1], v[vgprLocalReadAddrA] offset:64 // L -> Reg lro=0 swapByteOffset=0 ti=16 vIdx=1 rIdx=0 oIdx=0 buffer=0 iui=0
	;; [unrolled: 1-line block ×4, first 2 shown]


/* local read b */

_ds_load_b32 v[vgprValuB_X0_I0+0], v[vgprLocalReadAddrB] offset:0 // L -> Reg lro=0 swapByteOffset=0 ti=64 vIdx=0 rIdx=0 oIdx=0 buffer=0 iui=0


/* local read inc a */

s_mov_b32 s53, 0x400                               // inc
_v_add_co_u32 v[vgprLocalReadAddrA], vcc, s53, v[vgprLocalReadAddrA] // lrA += 1024 (LSU*(MT+PAD)*bpe)


/* local read inc b */

s_mov_b32 s53, 0x400                               // inc
_v_add_co_u32 v[vgprLocalReadAddrB], vcc, s53, v[vgprLocalReadAddrB] // lrB += 1024 (LSU*(MT+PAD)*bpe)

s_waitcnt lgkmcnt(0)                               // lgkmcnt=0 vmcnt=-14wait for local read


v_mfma_f32_16x16x4f32 a[0+0:3+0], v[vgprValuA_X0_I0+0+0+0], v[vgprValuB_X0_I0+0+0+0], a[0:3]
v_mfma_f32_16x16x4f32 a[4+0:7+0], v[vgprValuA_X0_I0+1+0+0], v[vgprValuB_X0_I0+0+0+0], a[4:7]
v_mfma_f32_16x16x4f32 a[8+0:11+0], v[vgprValuA_X0_I0+2+0+0], v[vgprValuB_X0_I0+0+0+0], a[8:11]
v_mfma_f32_16x16x4f32 a[12+0:15+0], v[vgprValuA_X0_I0+3+0+0], v[vgprValuB_X0_I0+0+0+0], a[12:15]


/* closeLoop loopL finalLoop=1 tailLoop=1 */
s_sub_i32 s[sgprLoopCounterL], s[sgprLoopCounterL], 0x4 // dec counterL (tailLoop)
s_add_u32 s[sgprOrigLoopCounter], s[sgprOrigLoopCounter], 0x4 // inc counterL
s_cmp_le_i32 s[sgprLoopCounterL], 0x0              // counterL<=0
s_cbranch_scc0 TailLoopBeginL_6                    // restart LoopL
TailLoopEndL_7:

SkipTailLoopL_8:

Summation_End_28:
/* endSummation: add vgpr [0...42) to pool */

/* Mapping of Acc register -> C Vgpr register */


/* shift vector components d1 */

v_mov_b32 v1, s[sgprWorkGroup1]                    // 
v_mul_i32_i24 v1, -0x40, v1                        // wg*MT
_v_add_co_u32 v1, vcc, s[sgprSizesFree+1], v1      // wgMT = Size - wg*MT
v_mov_b32 v2, 0x40                                 // MT
v_min_u32 v1, v2, v1                               // wgMT = (wgMT < MT) ? wgMT : MT
v_lshrrev_b32 v0, 6, v[vgprSerial]                 // v0 = v[vgprSerial] / 64
v_and_b32 v3, 3, v0                                // v3 = v0 % 4
v_lshrrev_b32 v0, 4, v1                            // v0 = v1 / 16
v_and_b32 v4, 3, v0                                // v4 = v0 % 4
v_cmp_eq_u32 s[54:55], v4, v3                      // wave_id == block_belong_to_wave?
v_cndmask_b32 v1, v2, v1, s[54:55]                 // wgMT = (wgMT < MT) ? wgMT : MT

/* mbReg: which mb block need to shift, mb(matrixInstCoal(16) * VectorWidth(1)) */
v_lshrrev_b32 v2, 4, v1                            // v2 = v1 / 16
v_lshlrev_b32 v4, 0x0, v3                          // v4 = v3 * 1
_v_sub_u32 v2, v2, v4                              // 

/* gbReg: glvw block id */
v_lshrrev_b32 v4, 2, v1                            // v4 = v1 / 4

/* tgbReg: glvw block id */
v_lshrrev_b32 v0, 0, v[vgprSerial]                 // v0 = v[vgprSerial] / 1
v_and_b32 v5, 15, v0                               // v5 = v0 % 16
                                                   // v5 = v5 * 1 (multiplier is 1, do nothing)
v_lshrrev_b32 v5, 2, v5                            // v5 = v5 / 4
v_lshlrev_b32 v3, 0x2, v3                          // v3 = v3 * 4
_v_add_co_u32 v5, vcc, v3, v5                      // tgbReg = (tid_coal * continOut) / GLVW
_v_sub_u32 v4, v4, v5                              // 

/* vwReg: glvw in which vw block? */
v_and_b32 v3, 0, v1                                // permute register between threads
v_lshrrev_b32 v3, 2, v3                            // permute register between threads

/* rReg : reminder of M_size % GlobalLoadVectorWidth */
v_and_b32 v5, 3, v1                                // v5 = v1 % 4
v_cmp_eq_u32 vcc, v5, 0x1                          // wgMT%VW == 1
s_cbranch_vccnz label_0029                         // branch to shift d1 r=1
v_cmp_eq_u32 vcc, v5, 0x2                          // wgMT%VW == 2
s_cbranch_vccnz label_0032                         // branch to shift d1 r=2
v_cmp_eq_u32 vcc, v5, 0x3                          // wgMT%VW == 3
s_cbranch_vccnz label_0035                         // branch to shift d1 r=3
s_branch label_0038                                // no shifting

/******************************************/
/* shift d1 r=1                           */
/******************************************/
label_0029:
v_cmp_eq_u32 vcc, v2, 0x0                          // 
s_cbranch_vccnz label_0030                         // branch to shift d1 r1 mb0

/******************************************/
/* shift d1 r=2                           */
/******************************************/
label_0032:
v_cmp_eq_u32 vcc, v2, 0x0                          // 
s_cbranch_vccnz label_0033                         // branch to shift d1 r2 mb0

/******************************************/
/* shift d1 r=3                           */
/******************************************/
label_0035:
v_cmp_eq_u32 vcc, v2, 0x0                          // 
s_cbranch_vccnz label_0036                         // branch to shift d1 r3 mb0

/******************************************/
/* shift d1 r=1 mb=0                      */
/******************************************/
label_0030: // r1 mb0 
v_cmp_eq_u32 vcc, v3, 0x0                          // 
s_cbranch_vccnz label_0031                         // branch to shift d1 r1 mb0 vw0

/******************************************/
/* shift d1 r=2 mb=0                      */
/******************************************/
label_0033: // r2 mb0 
v_cmp_eq_u32 vcc, v3, 0x0                          // 
s_cbranch_vccnz label_0034                         // branch to shift d1 r2 mb0 vw0

/******************************************/
/* shift d1 r=3 mb=0                      */
/******************************************/
label_0036: // r3 mb0 
v_cmp_eq_u32 vcc, v3, 0x0                          // 
s_cbranch_vccnz label_0037                         // branch to shift d1 r3 mb0 vw0

/******************************************/
/* shift d1 r=1 mb=0 vw0                  */
/******************************************/
label_0031: // r1 mb0 vw0 
s_mov_b32 s54, 0                                   // 
_v_cmpx_eq_u32 s[54:55], v4, s54                   // is thread in edge glvw region
v_and_b32 v0, 63, v[vgprSerial]                    // permute register between threads
v_lshlrev_b32 v0, 2, v0                            // permute register between threads
v_accvgpr_read_b32 v5, acc0                        // glvw 1 mb 0 tt1 0 r 0
s_nop 1                                            // v_accvgpr read vgpr after write vgpr: 2 wait states
ds_bpermute_b32 v5, v0, v5, offset:12              // permute edge values
s_waitcnt 0                                        // wait for swizzle operation
v_accvgpr_write_b32 acc0, v5                       // 
v_accvgpr_read_b32 v5, acc1                        // glvw 1 mb 0 tt1 1 r 0
s_nop 1                                            // v_accvgpr read vgpr after write vgpr: 2 wait states
ds_bpermute_b32 v5, v0, v5, offset:12              // permute edge values
s_waitcnt 0                                        // wait for swizzle operation
v_accvgpr_write_b32 acc1, v5                       // 
v_accvgpr_read_b32 v5, acc2                        // glvw 1 mb 0 tt1 2 r 0
s_nop 1                                            // v_accvgpr read vgpr after write vgpr: 2 wait states
ds_bpermute_b32 v5, v0, v5, offset:12              // permute edge values
s_waitcnt 0                                        // wait for swizzle operation
v_accvgpr_write_b32 acc2, v5                       // 
v_accvgpr_read_b32 v5, acc3                        // glvw 1 mb 0 tt1 3 r 0
s_nop 1                                            // v_accvgpr read vgpr after write vgpr: 2 wait states
ds_bpermute_b32 v5, v0, v5, offset:12              // permute edge values
s_waitcnt 0                                        // wait for swizzle operation
v_accvgpr_write_b32 acc3, v5                       // 
v_accvgpr_read_b32 v5, acc4                        // glvw 1 mb 0 tt1 4 r 0
s_nop 1                                            // v_accvgpr read vgpr after write vgpr: 2 wait states
ds_bpermute_b32 v5, v0, v5, offset:12              // permute edge values
s_waitcnt 0                                        // wait for swizzle operation
v_accvgpr_write_b32 acc4, v5                       // 
v_accvgpr_read_b32 v5, acc5                        // glvw 1 mb 0 tt1 5 r 0
s_nop 1                                            // v_accvgpr read vgpr after write vgpr: 2 wait states
ds_bpermute_b32 v5, v0, v5, offset:12              // permute edge values
s_waitcnt 0                                        // wait for swizzle operation
v_accvgpr_write_b32 acc5, v5                       // 
v_accvgpr_read_b32 v5, acc6                        // glvw 1 mb 0 tt1 6 r 0
s_nop 1                                            // v_accvgpr read vgpr after write vgpr: 2 wait states
ds_bpermute_b32 v5, v0, v5, offset:12              // permute edge values
s_waitcnt 0                                        // wait for swizzle operation
v_accvgpr_write_b32 acc6, v5                       // 
v_accvgpr_read_b32 v5, acc7                        // glvw 1 mb 0 tt1 7 r 0
s_nop 1                                            // v_accvgpr read vgpr after write vgpr: 2 wait states
ds_bpermute_b32 v5, v0, v5, offset:12              // permute edge values
s_waitcnt 0                                        // wait for swizzle operation
v_accvgpr_write_b32 acc7, v5                       // 
v_accvgpr_read_b32 v5, acc8                        // glvw 1 mb 0 tt1 8 r 0
s_nop 1                                            // v_accvgpr read vgpr after write vgpr: 2 wait states
ds_bpermute_b32 v5, v0, v5, offset:12              // permute edge values
s_waitcnt 0                                        // wait for swizzle operation
v_accvgpr_write_b32 acc8, v5                       // 
v_accvgpr_read_b32 v5, acc9                        // glvw 1 mb 0 tt1 9 r 0
s_nop 1                                            // v_accvgpr read vgpr after write vgpr: 2 wait states
ds_bpermute_b32 v5, v0, v5, offset:12              // permute edge values
s_waitcnt 0                                        // wait for swizzle operation
v_accvgpr_write_b32 acc9, v5                       // 
v_accvgpr_read_b32 v5, acc10                       // glvw 1 mb 0 tt1 10 r 0
s_nop 1                                            // v_accvgpr read vgpr after write vgpr: 2 wait states
ds_bpermute_b32 v5, v0, v5, offset:12              // permute edge values
s_waitcnt 0                                        // wait for swizzle operation
v_accvgpr_write_b32 acc10, v5                      // 
v_accvgpr_read_b32 v5, acc11                       // glvw 1 mb 0 tt1 11 r 0
s_nop 1                                            // v_accvgpr read vgpr after write vgpr: 2 wait states
ds_bpermute_b32 v5, v0, v5, offset:12              // permute edge values
s_waitcnt 0                                        // wait for swizzle operation
v_accvgpr_write_b32 acc11, v5                      // 
v_accvgpr_read_b32 v5, acc12                       // glvw 1 mb 0 tt1 12 r 0
s_nop 1                                            // v_accvgpr read vgpr after write vgpr: 2 wait states
ds_bpermute_b32 v5, v0, v5, offset:12              // permute edge values
s_waitcnt 0                                        // wait for swizzle operation
v_accvgpr_write_b32 acc12, v5                      // 
v_accvgpr_read_b32 v5, acc13                       // glvw 1 mb 0 tt1 13 r 0
s_nop 1                                            // v_accvgpr read vgpr after write vgpr: 2 wait states
ds_bpermute_b32 v5, v0, v5, offset:12              // permute edge values
s_waitcnt 0                                        // wait for swizzle operation
v_accvgpr_write_b32 acc13, v5                      // 
v_accvgpr_read_b32 v5, acc14                       // glvw 1 mb 0 tt1 14 r 0
s_nop 1                                            // v_accvgpr read vgpr after write vgpr: 2 wait states
ds_bpermute_b32 v5, v0, v5, offset:12              // permute edge values
s_waitcnt 0                                        // wait for swizzle operation
v_accvgpr_write_b32 acc14, v5                      // 
v_accvgpr_read_b32 v5, acc15                       // glvw 1 mb 0 tt1 15 r 0
s_nop 1                                            // v_accvgpr read vgpr after write vgpr: 2 wait states
ds_bpermute_b32 v5, v0, v5, offset:12              // permute edge values
s_waitcnt 0                                        // wait for swizzle operation
v_accvgpr_write_b32 acc15, v5                      // 
s_mov_b64 s[54:55], 0xFFFFFFFFFFFFFFFF             // to restore all threads active
s_or_saveexec_b64 vcc, s[54:55]                    // all threads active
s_branch label_0038                                // done shifting


/******************************************/
/* shift d1 r=2 mb=0 vw0                  */
/******************************************/
label_0034: // r2 mb0 vw0 
s_mov_b32 s54, 0                                   // 
_v_cmpx_eq_u32 s[54:55], v4, s54                   // is thread in edge glvw region
v_and_b32 v0, 63, v[vgprSerial]                    // permute register between threads
v_lshlrev_b32 v0, 2, v0                            // permute register between threads
v_accvgpr_read_b32 v5, acc0                        // glvw 2 mb 0 tt1 0 r 0
s_nop 1                                            // v_accvgpr read vgpr after write vgpr: 2 wait states
ds_bpermute_b32 v5, v0, v5, offset:8               // permute edge values
s_waitcnt 0                                        // wait for swizzle operation
v_accvgpr_write_b32 acc0, v5                       // 
v_accvgpr_read_b32 v5, acc1                        // glvw 2 mb 0 tt1 1 r 0
s_nop 1                                            // v_accvgpr read vgpr after write vgpr: 2 wait states
ds_bpermute_b32 v5, v0, v5, offset:8               // permute edge values
s_waitcnt 0                                        // wait for swizzle operation
v_accvgpr_write_b32 acc1, v5                       // 
v_accvgpr_read_b32 v5, acc2                        // glvw 2 mb 0 tt1 2 r 0
s_nop 1                                            // v_accvgpr read vgpr after write vgpr: 2 wait states
ds_bpermute_b32 v5, v0, v5, offset:8               // permute edge values
s_waitcnt 0                                        // wait for swizzle operation
v_accvgpr_write_b32 acc2, v5                       // 
v_accvgpr_read_b32 v5, acc3                        // glvw 2 mb 0 tt1 3 r 0
s_nop 1                                            // v_accvgpr read vgpr after write vgpr: 2 wait states
ds_bpermute_b32 v5, v0, v5, offset:8               // permute edge values
s_waitcnt 0                                        // wait for swizzle operation
v_accvgpr_write_b32 acc3, v5                       // 
v_accvgpr_read_b32 v5, acc4                        // glvw 2 mb 0 tt1 4 r 0
s_nop 1                                            // v_accvgpr read vgpr after write vgpr: 2 wait states
ds_bpermute_b32 v5, v0, v5, offset:8               // permute edge values
s_waitcnt 0                                        // wait for swizzle operation
v_accvgpr_write_b32 acc4, v5                       // 
v_accvgpr_read_b32 v5, acc5                        // glvw 2 mb 0 tt1 5 r 0
s_nop 1                                            // v_accvgpr read vgpr after write vgpr: 2 wait states
ds_bpermute_b32 v5, v0, v5, offset:8               // permute edge values
s_waitcnt 0                                        // wait for swizzle operation
v_accvgpr_write_b32 acc5, v5                       // 
v_accvgpr_read_b32 v5, acc6                        // glvw 2 mb 0 tt1 6 r 0
s_nop 1                                            // v_accvgpr read vgpr after write vgpr: 2 wait states
ds_bpermute_b32 v5, v0, v5, offset:8               // permute edge values
s_waitcnt 0                                        // wait for swizzle operation
v_accvgpr_write_b32 acc6, v5                       // 
v_accvgpr_read_b32 v5, acc7                        // glvw 2 mb 0 tt1 7 r 0
s_nop 1                                            // v_accvgpr read vgpr after write vgpr: 2 wait states
ds_bpermute_b32 v5, v0, v5, offset:8               // permute edge values
s_waitcnt 0                                        // wait for swizzle operation
v_accvgpr_write_b32 acc7, v5                       // 
v_accvgpr_read_b32 v5, acc8                        // glvw 2 mb 0 tt1 8 r 0
s_nop 1                                            // v_accvgpr read vgpr after write vgpr: 2 wait states
ds_bpermute_b32 v5, v0, v5, offset:8               // permute edge values
s_waitcnt 0                                        // wait for swizzle operation
v_accvgpr_write_b32 acc8, v5                       // 
v_accvgpr_read_b32 v5, acc9                        // glvw 2 mb 0 tt1 9 r 0
s_nop 1                                            // v_accvgpr read vgpr after write vgpr: 2 wait states
ds_bpermute_b32 v5, v0, v5, offset:8               // permute edge values
s_waitcnt 0                                        // wait for swizzle operation
v_accvgpr_write_b32 acc9, v5                       // 
v_accvgpr_read_b32 v5, acc10                       // glvw 2 mb 0 tt1 10 r 0
s_nop 1                                            // v_accvgpr read vgpr after write vgpr: 2 wait states
ds_bpermute_b32 v5, v0, v5, offset:8               // permute edge values
s_waitcnt 0                                        // wait for swizzle operation
v_accvgpr_write_b32 acc10, v5                      // 
v_accvgpr_read_b32 v5, acc11                       // glvw 2 mb 0 tt1 11 r 0
s_nop 1                                            // v_accvgpr read vgpr after write vgpr: 2 wait states
ds_bpermute_b32 v5, v0, v5, offset:8               // permute edge values
s_waitcnt 0                                        // wait for swizzle operation
v_accvgpr_write_b32 acc11, v5                      // 
v_accvgpr_read_b32 v5, acc12                       // glvw 2 mb 0 tt1 12 r 0
s_nop 1                                            // v_accvgpr read vgpr after write vgpr: 2 wait states
ds_bpermute_b32 v5, v0, v5, offset:8               // permute edge values
s_waitcnt 0                                        // wait for swizzle operation
v_accvgpr_write_b32 acc12, v5                      // 
v_accvgpr_read_b32 v5, acc13                       // glvw 2 mb 0 tt1 13 r 0
s_nop 1                                            // v_accvgpr read vgpr after write vgpr: 2 wait states
ds_bpermute_b32 v5, v0, v5, offset:8               // permute edge values
s_waitcnt 0                                        // wait for swizzle operation
v_accvgpr_write_b32 acc13, v5                      // 
v_accvgpr_read_b32 v5, acc14                       // glvw 2 mb 0 tt1 14 r 0
s_nop 1                                            // v_accvgpr read vgpr after write vgpr: 2 wait states
ds_bpermute_b32 v5, v0, v5, offset:8               // permute edge values
s_waitcnt 0                                        // wait for swizzle operation
v_accvgpr_write_b32 acc14, v5                      // 
v_accvgpr_read_b32 v5, acc15                       // glvw 2 mb 0 tt1 15 r 0
s_nop 1                                            // v_accvgpr read vgpr after write vgpr: 2 wait states
ds_bpermute_b32 v5, v0, v5, offset:8               // permute edge values
s_waitcnt 0                                        // wait for swizzle operation
v_accvgpr_write_b32 acc15, v5                      // 
s_mov_b64 s[54:55], 0xFFFFFFFFFFFFFFFF             // to restore all threads active
s_or_saveexec_b64 vcc, s[54:55]                    // all threads active
s_branch label_0038                                // done shifting


/******************************************/
/* shift d1 r=3 mb=0 vw0                  */
/******************************************/
label_0037: // r3 mb0 vw0 
s_mov_b32 s54, 0                                   // 
_v_cmpx_eq_u32 s[54:55], v4, s54                   // is thread in edge glvw region
v_and_b32 v0, 63, v[vgprSerial]                    // permute register between threads
v_lshlrev_b32 v0, 2, v0                            // permute register between threads
v_accvgpr_read_b32 v5, acc0                        // glvw 3 mb 0 tt1 0 r 0
s_nop 1                                            // v_accvgpr read vgpr after write vgpr: 2 wait states
ds_bpermute_b32 v5, v0, v5, offset:4               // permute edge values
s_waitcnt 0                                        // wait for swizzle operation
v_accvgpr_write_b32 acc0, v5                       // 
v_accvgpr_read_b32 v5, acc1                        // glvw 3 mb 0 tt1 1 r 0
s_nop 1                                            // v_accvgpr read vgpr after write vgpr: 2 wait states
ds_bpermute_b32 v5, v0, v5, offset:4               // permute edge values
s_waitcnt 0                                        // wait for swizzle operation
v_accvgpr_write_b32 acc1, v5                       // 
v_accvgpr_read_b32 v5, acc2                        // glvw 3 mb 0 tt1 2 r 0
s_nop 1                                            // v_accvgpr read vgpr after write vgpr: 2 wait states
ds_bpermute_b32 v5, v0, v5, offset:4               // permute edge values
s_waitcnt 0                                        // wait for swizzle operation
v_accvgpr_write_b32 acc2, v5                       // 
v_accvgpr_read_b32 v5, acc3                        // glvw 3 mb 0 tt1 3 r 0
s_nop 1                                            // v_accvgpr read vgpr after write vgpr: 2 wait states
ds_bpermute_b32 v5, v0, v5, offset:4               // permute edge values
s_waitcnt 0                                        // wait for swizzle operation
v_accvgpr_write_b32 acc3, v5                       // 
v_accvgpr_read_b32 v5, acc4                        // glvw 3 mb 0 tt1 4 r 0
s_nop 1                                            // v_accvgpr read vgpr after write vgpr: 2 wait states
ds_bpermute_b32 v5, v0, v5, offset:4               // permute edge values
s_waitcnt 0                                        // wait for swizzle operation
v_accvgpr_write_b32 acc4, v5                       // 
v_accvgpr_read_b32 v5, acc5                        // glvw 3 mb 0 tt1 5 r 0
s_nop 1                                            // v_accvgpr read vgpr after write vgpr: 2 wait states
ds_bpermute_b32 v5, v0, v5, offset:4               // permute edge values
s_waitcnt 0                                        // wait for swizzle operation
v_accvgpr_write_b32 acc5, v5                       // 
v_accvgpr_read_b32 v5, acc6                        // glvw 3 mb 0 tt1 6 r 0
s_nop 1                                            // v_accvgpr read vgpr after write vgpr: 2 wait states
ds_bpermute_b32 v5, v0, v5, offset:4               // permute edge values
s_waitcnt 0                                        // wait for swizzle operation
v_accvgpr_write_b32 acc6, v5                       // 
v_accvgpr_read_b32 v5, acc7                        // glvw 3 mb 0 tt1 7 r 0
s_nop 1                                            // v_accvgpr read vgpr after write vgpr: 2 wait states
ds_bpermute_b32 v5, v0, v5, offset:4               // permute edge values
s_waitcnt 0                                        // wait for swizzle operation
v_accvgpr_write_b32 acc7, v5                       // 
v_accvgpr_read_b32 v5, acc8                        // glvw 3 mb 0 tt1 8 r 0
s_nop 1                                            // v_accvgpr read vgpr after write vgpr: 2 wait states
ds_bpermute_b32 v5, v0, v5, offset:4               // permute edge values
s_waitcnt 0                                        // wait for swizzle operation
v_accvgpr_write_b32 acc8, v5                       // 
v_accvgpr_read_b32 v5, acc9                        // glvw 3 mb 0 tt1 9 r 0
s_nop 1                                            // v_accvgpr read vgpr after write vgpr: 2 wait states
ds_bpermute_b32 v5, v0, v5, offset:4               // permute edge values
s_waitcnt 0                                        // wait for swizzle operation
v_accvgpr_write_b32 acc9, v5                       // 
v_accvgpr_read_b32 v5, acc10                       // glvw 3 mb 0 tt1 10 r 0
s_nop 1                                            // v_accvgpr read vgpr after write vgpr: 2 wait states
ds_bpermute_b32 v5, v0, v5, offset:4               // permute edge values
s_waitcnt 0                                        // wait for swizzle operation
v_accvgpr_write_b32 acc10, v5                      // 
v_accvgpr_read_b32 v5, acc11                       // glvw 3 mb 0 tt1 11 r 0
s_nop 1                                            // v_accvgpr read vgpr after write vgpr: 2 wait states
ds_bpermute_b32 v5, v0, v5, offset:4               // permute edge values
s_waitcnt 0                                        // wait for swizzle operation
v_accvgpr_write_b32 acc11, v5                      // 
v_accvgpr_read_b32 v5, acc12                       // glvw 3 mb 0 tt1 12 r 0
s_nop 1                                            // v_accvgpr read vgpr after write vgpr: 2 wait states
ds_bpermute_b32 v5, v0, v5, offset:4               // permute edge values
s_waitcnt 0                                        // wait for swizzle operation
v_accvgpr_write_b32 acc12, v5                      // 
v_accvgpr_read_b32 v5, acc13                       // glvw 3 mb 0 tt1 13 r 0
s_nop 1                                            // v_accvgpr read vgpr after write vgpr: 2 wait states
ds_bpermute_b32 v5, v0, v5, offset:4               // permute edge values
s_waitcnt 0                                        // wait for swizzle operation
v_accvgpr_write_b32 acc13, v5                      // 
v_accvgpr_read_b32 v5, acc14                       // glvw 3 mb 0 tt1 14 r 0
s_nop 1                                            // v_accvgpr read vgpr after write vgpr: 2 wait states
ds_bpermute_b32 v5, v0, v5, offset:4               // permute edge values
s_waitcnt 0                                        // wait for swizzle operation
v_accvgpr_write_b32 acc14, v5                      // 
v_accvgpr_read_b32 v5, acc15                       // glvw 3 mb 0 tt1 15 r 0
s_nop 1                                            // v_accvgpr read vgpr after write vgpr: 2 wait states
ds_bpermute_b32 v5, v0, v5, offset:4               // permute edge values
s_waitcnt 0                                        // wait for swizzle operation
v_accvgpr_write_b32 acc15, v5                      // 
s_mov_b64 s[54:55], 0xFFFFFFFFFFFFFFFF             // to restore all threads active
s_or_saveexec_b64 vcc, s[54:55]                    // all threads active
s_branch label_0038                                // done shifting

label_0038: // end shift0


	;; [unrolled: 1-line block ×3, first 2 shown]
/* not-LocalSplitU: global write indices */

/* computeStoreVgprs */
v_lshrrev_b32 v4, 6, v[vgprSerial]                 // v4 = v[vgprSerial] / 64
v_lshrrev_b32 v1, 0, v4                            // v1 = v4 / 1
v_mul_lo_u32 v1, 0x10, v1                          // wave coordination offset 1
v_and_b32 v5, 15, v[vgprSerial]                    // v5 = v[vgprSerial] % 16
_v_add_lshl_u32 v1, v5, v1, 0                      // coordination 1 = vwb *(wave_id1 + tid1)
v_mul_lo_u32 v2, v1, s[sgprStrideC1J]              //  offset 1
v_mul_lo_u32 v3, v1, s[sgprStrideD1J]              //  offset 1
v_and_b32 v0, 63, v[vgprSerial]                    // v0 = v[vgprSerial] % 64
v_lshrrev_b32 v0, 4, v0                            // v0 = v0 / 16
v_lshlrev_b32 v0, 0x2, v0                          // thread0 * continuous_output
v_and_b32 v5, 0, v4                                // v5 = v4 % 1
v_mul_lo_u32 v5, 0x10, v5                          // wave coordination offset 0
_v_add_lshl_u32 v0, v5, v0, 0                      // coordination 0 = vwa *(wave_id0 + tid0)
s_mul_i32 s53, 64, s[sgprWorkGroup0]               // wgp0 * MT0
_v_add_u32 v0, s53, v0                             // coord 0 = (tid0/MI_m)*4 + waveG0*MIB_m + MT0*SG0
s_mul_i32 s53, 64, s[sgprWorkGroup1]               // wgp1 * MT1
_v_add_u32 v1, s53, v1                             // coord 1 = (tid0%MI_m) + waveG1*MIB_n + MT1*SG1
/* Store Remap Local Write address */
v_lshrrev_b32 v5, 6, v[vgprSerial]                 // v5 = v[vgprSerial] / 64
v_and_b32 v4, 63, v[vgprSerial]                    // v4 = v[vgprSerial] % 64
v_mul_lo_u32 v13, 0x10, v5                         // coord1 offset of LDS for each Wave
v_and_b32 v5, 0xf, v[vgprSerial]                   // coord1 offset of LDS for each thread
_v_add_u32 v5, v13, v5                             // coord1 offset in MacroTile
v_mov_b32 v11, 0x44                                // lds stride = MT0 + PAD
v_mul_lo_u32 v9, v5, v11                           // lds coord1 offset = Col-id* lds stride
v_lshrrev_b32 v10, 6, v4                           // v10 = v4 / 64
v_and_b32 v4, 63, v4                               // v4 = v4 % 64
v_lshrrev_b32 v12, 0x4, v4                         // tid / matrixInstN
v_lshlrev_b32 v12, 0x2, v12                        // lds coord0 offset *= 4 (each thread hold 4 element)
v_mad_u32_u24 v12, 16, v10, v12                    // coord0 += waveCoord0 * wave M shape(blockM*MiM)
_v_add_lshl_u32 v7, v9, v12, 0x2                   // local write C address

/* Store Remap Local Read address */
v_lshrrev_b32 v5, 6, v[vgprSerial]                 // v5 = v[vgprSerial] / 64
v_and_b32 v4, 63, v[vgprSerial]                    // v4 = v[vgprSerial] % 64
v_mul_lo_u32 v13, 0x10, v5                         // coord1 offset of LDS for each Wave
v_lshrrev_b32 v10, 0x4, v4                         // tid / nThreadPerCol
_v_add_u32 v6, v13, v10                            // coord1 offset in MacroTile
v_mul_lo_u32 v9, v6, v11                           // lds coord1 offset = Col-id* lds stride
v_and_b32 v12, 0xf, v4                             // coord0 offset of LDS for each thread
v_lshlrev_b32 v12, 0x2, v12                        // lds coord0 offset *= gwvw (each thread hold gwvw element)
_v_add_lshl_u32 v8, v9, v12, 0x2                   // local read C address

/* Store Remap global write coord0 and coord1 */
v_lshrrev_b32 v5, 6, v[vgprSerial]                 // v5 = v[vgprSerial] / 64
v_and_b32 v4, 63, v[vgprSerial]                    // v4 = v[vgprSerial] % 64
v_mul_lo_u32 v13, 0x10, v5                         // coord1 offset of global memory for each Wave
v_lshrrev_b32 v5, 6, v4                            // v5 = v4 / 64
v_and_b32 v4, 63, v4                               // v4 = v4 % 64
v_mad_u32_u24 v13, 16, v5, v13                     // waveCoord1 += waveCoord0 * MiN / WaveGroupM
v_lshrrev_b32 v10, 0x4, v4                         // tid / nThreadPerCol
_v_add_u32 v6, v13, v10                            // coord1 offset in MacroTile
s_mul_i32 s54, 0x40, s[sgprWorkGroup0]             // s54 = wg0*MT0
_v_add_co_u32 v4, vcc, s54, v12                    // coord0 = coord0 + wg0 * MT0
s_mul_i32 s55, MT1, s[sgprWorkGroup1]              // <- wg1*MT1
_v_add_co_u32 v5, vcc, s55, v6                     // coord1 = tid1*VW + wg1*MT1

s_waitcnt lgkmcnt(0) & vmcnt(0)                    // force waitcnt0
s_barrier //StoreRemap Start


/* not-LocalSplitU: global write */

s_cmpk_eq_u32 s[sgprBeta], 0x0                     // Beta == 0
s_cbranch_scc0 GW_Beta_55                          // Branch if Beta is not zero

s_and_b32 s54, 63, s[sgprSizeI]                    // s54 = s[sgprSizeI] % 64
s_add_u32 s55, -0x1, s[sgprNumWorkGroups0]         // 
s_cmp_ge_u32 s[sgprWorkGroup0], s55                // wg0 >= nwg0-1 ?
s_cselect_b32 s54, s54, 0                          // set rMT0
s_cmpk_gt_u32 s54, 0x0                             // rMT0 > 0
s_cbranch_scc1 GW_B0_E1_46                         // jump if edges required
s_and_b32 s54, 63, s[sgprSizeJ]                    // s54 = s[sgprSizeJ] % 64
s_add_u32 s55, -0x1, s[sgprNumWorkGroups1]         // 
s_cmp_ge_u32 s[sgprWorkGroup1], s55                // wg1 >= nwg1-1
s_cselect_b32 s54, s54, 0                          // set rMT1
s_cmpk_gt_u32 s54, 0x0                             // rMT1 > 0
s_cbranch_scc1 GW_B0_E1_46                         // jump if edges required
GW_B0_E0_43:

/* edge=0, allocate 2 sgpr. perBatchTmpS=2 perBatchMaskS=0 perElementMaskS=0 elementsPerBatch=4 */
/* optSingleColVgpr=1 optSharedColVgpr=0 optSGPRUsage=BufferLoad_Mask optSrdIncForRow=1 */

/******************************************/
/* Global Write Alpha Batch #0 (d1,d0,vc1,vc0) = */
/*    (0,0,0,0:vw4); (0,1,0,0:vw4); (0,2,0,0:vw4); (0,3,0,0:vw4) */
/******************************************/

/* calc coords, apply mask, and issue loads (if necessary) */
/* (d1,vc1,d0,vc0)=(0,0,0,0) */
/* (d1,vc1,d0,vc0)=(0,0,1,0) */
	;; [unrolled: 1-line block ×4, first 2 shown]
_v_add_lshl_u32 v9, v3, v0, 0x2                    // optSingleColVgpr scaleToBpe: sharedAddrVgpr <- cinRowPtr + coord0, scaled by BPE. BSHERE:coord0=0, coord0Vgpr=0
v_accvgpr_read_b32 v[vgprValuC+16], acc0 // copy acc to vreg[0]
v_accvgpr_read_b32 v[vgprValuC+17], acc1 // copy acc to vreg[1]
v_accvgpr_read_b32 v[vgprValuC+18], acc2 // copy acc to vreg[2]
v_accvgpr_read_b32 v[vgprValuC+19], acc3 // copy acc to vreg[3]
v_accvgpr_read_b32 v[vgprValuC+20], acc4 // copy acc to vreg[4]
v_accvgpr_read_b32 v[vgprValuC+21], acc5 // copy acc to vreg[5]
v_accvgpr_read_b32 v[vgprValuC+22], acc6 // copy acc to vreg[6]
v_accvgpr_read_b32 v[vgprValuC+23], acc7 // copy acc to vreg[7]
v_accvgpr_read_b32 v[vgprValuC+24], acc8 // copy acc to vreg[8]
v_accvgpr_read_b32 v[vgprValuC+25], acc9 // copy acc to vreg[9]
v_accvgpr_read_b32 v[vgprValuC+26], acc10 // copy acc to vreg[10]
v_accvgpr_read_b32 v[vgprValuC+27], acc11 // copy acc to vreg[11]
v_accvgpr_read_b32 v[vgprValuC+28], acc12 // copy acc to vreg[12]
v_accvgpr_read_b32 v[vgprValuC+29], acc13 // copy acc to vreg[13]
v_accvgpr_read_b32 v[vgprValuC+30], acc14 // copy acc to vreg[14]
v_accvgpr_read_b32 v[vgprValuC+31], acc15 // copy acc to vreg[15]
s_nop 1                                            // 2 wait states required before reading vgpr

/* rC *= alpha batchElements=[(0, 0, 0, 0), (0, 1, 0, 0), (0, 2, 0, 0), (0, 3, 0, 0)] */
v_mul_f32 v[vgprValuC+16], s[sgprAlpha], v[vgprValuC+16] // *= alpha
v_mul_f32 v[vgprValuC+17], s[sgprAlpha], v[vgprValuC+17] // *= alpha
	;; [unrolled: 1-line block ×16, first 2 shown]

/* apply mask, calc new C and issue writes */
_ds_store_b128 v7, v[16:19], offset:0              // storeRemap lw
_ds_store_b128 v7, v[20:23], offset:64             // storeRemap lw
_ds_store_b128 v7, v[24:27], offset:128            // storeRemap lw
_ds_store_b128 v7, v[28:31], offset:192            // storeRemap lw

/* Handle local read and global write */
s_waitcnt lgkmcnt(0)                               // wait for LDS write

_ds_load_b128 v[16:19], v8, offset:0               // storeRemap lr
_ds_load_b128 v[20:23], v8, offset:1088            // storeRemap lr
_ds_load_b128 v[24:27], v8, offset:2176            // storeRemap lr
_ds_load_b128 v[28:31], v8, offset:3264            // storeRemap lr

v_mov_b32 v13, v6                                  // coord1
v_mul_lo_u32 v13, v13, s[sgprStrideD1J]            // coord1 offset =  coord1 * StrideD
_v_add_lshl_u32 v13, v13, v4, 0x2                  // global write D address
s_waitcnt lgkmcnt(3)                               // wait for LDS read
_buffer_store_b128 v[16:19], v13, s[sgprSrdD:sgprSrdD+3], 0, offen, offset:0 // store D
_v_add_u32 v13, v6, 4                              // coord1 += nColPerLoad
v_mul_lo_u32 v13, v13, s[sgprStrideD1J]            // coord1 offset =  coord1 * StrideD
_v_add_lshl_u32 v13, v13, v4, 0x2                  // global write D address
s_waitcnt lgkmcnt(2)                               // wait for LDS read
_buffer_store_b128 v[20:23], v13, s[sgprSrdD:sgprSrdD+3], 0, offen, offset:0 // store D
_v_add_u32 v13, v6, 8                              // coord1 += nColPerLoad
v_mul_lo_u32 v13, v13, s[sgprStrideD1J]            // coord1 offset =  coord1 * StrideD
_v_add_lshl_u32 v13, v13, v4, 0x2                  // global write D address
s_waitcnt lgkmcnt(1)                               // wait for LDS read
_buffer_store_b128 v[24:27], v13, s[sgprSrdD:sgprSrdD+3], 0, offen, offset:0 // store D
_v_add_u32 v13, v6, 12                             // coord1 += nColPerLoad
v_mul_lo_u32 v13, v13, s[sgprStrideD1J]            // coord1 offset =  coord1 * StrideD
_v_add_lshl_u32 v13, v13, v4, 0x2                  // global write D address
s_waitcnt lgkmcnt(0)                               // wait for LDS read
_buffer_store_b128 v[28:31], v13, s[sgprSrdD:sgprSrdD+3], 0, offen, offset:0 // store D

s_nop 0                                            // 1 wait state required when next inst writes vgprs held by previous dwordx4 store inst
s_branch label_GW_End_54                           // jump to end
GW_B0_E1_46:

/* edge=0, allocate 6 sgpr. perBatchTmpS=4 perBatchMaskS=2 perElementMaskS=0 elementsPerBatch=4 */
/* optSingleColVgpr=0 optSharedColVgpr=0 optSGPRUsage=BufferLoad_Edge_Mask optSrdIncForRow=1 */

/******************************************/
/* Global Write Alpha Edge Batch #0 (d1,d0,vc1,vc0) = */
/*    (0,0,0,0:vw4); (0,1,0,0:vw4); (0,2,0,0:vw4); (0,3,0,0:vw4) */
/******************************************/

/* calc coords, apply mask, and issue loads (if necessary) */
/* (d1,vc1,d0,vc0)=(0,0,0,0) */
_v_add_lshl_u32 v9, v3, v0, 0x2                    // scaleToBpe: accumulate d0 lower and *= bpe into Cin addr
/* (d1,vc1,d0,vc0)=(0,0,1,0) */
_v_add_co_u32 v10, vcc, v0, 16                     // coord0.1: coord0 += d0*sg0*VW + vc0
_v_add_lshl_u32 v16, v3, v10, 0x2                  // scaleToBpe: accumulate d0 lower and *= bpe into Cin addr
/* (d1,vc1,d0,vc0)=(0,0,2,0) */
_v_add_co_u32 v10, vcc, v0, 32                     // coord0.1: coord0 += d0*sg0*VW + vc0
_v_add_lshl_u32 v17, v3, v10, 0x2                  // scaleToBpe: accumulate d0 lower and *= bpe into Cin addr
/* (d1,vc1,d0,vc0)=(0,0,3,0) */
_v_add_co_u32 v10, vcc, v0, 48                     // coord0.1: coord0 += d0*sg0*VW + vc0
_v_add_lshl_u32 v18, v3, v10, 0x2                  // scaleToBpe: accumulate d0 lower and *= bpe into Cin addr
v_accvgpr_read_b32 v[vgprValuC+12], acc0 // copy acc to vreg[0]
v_accvgpr_read_b32 v[vgprValuC+13], acc1 // copy acc to vreg[1]
v_accvgpr_read_b32 v[vgprValuC+14], acc2 // copy acc to vreg[2]
v_accvgpr_read_b32 v[vgprValuC+15], acc3 // copy acc to vreg[3]
v_accvgpr_read_b32 v[vgprValuC+20], acc4 // copy acc to vreg[4]
v_accvgpr_read_b32 v[vgprValuC+21], acc5 // copy acc to vreg[5]
v_accvgpr_read_b32 v[vgprValuC+22], acc6 // copy acc to vreg[6]
v_accvgpr_read_b32 v[vgprValuC+23], acc7 // copy acc to vreg[7]
v_accvgpr_read_b32 v[vgprValuC+24], acc8 // copy acc to vreg[8]
v_accvgpr_read_b32 v[vgprValuC+25], acc9 // copy acc to vreg[9]
v_accvgpr_read_b32 v[vgprValuC+26], acc10 // copy acc to vreg[10]
v_accvgpr_read_b32 v[vgprValuC+27], acc11 // copy acc to vreg[11]
v_accvgpr_read_b32 v[vgprValuC+28], acc12 // copy acc to vreg[12]
v_accvgpr_read_b32 v[vgprValuC+29], acc13 // copy acc to vreg[13]
v_accvgpr_read_b32 v[vgprValuC+30], acc14 // copy acc to vreg[14]
v_accvgpr_read_b32 v[vgprValuC+31], acc15 // copy acc to vreg[15]
s_nop 1                                            // 2 wait states required before reading vgpr

/* rC *= alpha batchElements=[(0, 0, 0, 0), (0, 1, 0, 0), (0, 2, 0, 0), (0, 3, 0, 0)] */
v_mul_f32 v[vgprValuC+12], s[sgprAlpha], v[vgprValuC+12] // *= alpha
v_mul_f32 v[vgprValuC+13], s[sgprAlpha], v[vgprValuC+13] // *= alpha
	;; [unrolled: 1-line block ×16, first 2 shown]

/* apply mask, calc new C and issue writes */
_ds_store_b128 v7, v[12:15], offset:0              // storeRemap lw
_ds_store_b128 v7, v[20:23], offset:64             // storeRemap lw
_ds_store_b128 v7, v[24:27], offset:128            // storeRemap lw
_ds_store_b128 v7, v[28:31], offset:192            // storeRemap lw

/* Handle local read and global write */
s_waitcnt lgkmcnt(0)                               // wait for LDS write

_ds_load_b128 v[12:15], v8, offset:0               // storeRemap lr
_ds_load_b128 v[16:19], v8, offset:1088            // storeRemap lr
_ds_load_b128 v[20:23], v8, offset:2176            // storeRemap lr
	;; [unrolled: 1-line block ×3, first 2 shown]

s_waitcnt lgkmcnt(3)                               // wait for LDS read
_v_add_u32 v11, v5, 0                              // coord1 += nColPerLoad
_v_add_u32 v10, v4, 0                              // coord0 += element index of load vector
_v_add_u32 v9, v6, 0                               // offset coord1 += nColPerLoad
v_cmp_lt_u32 s[54:55], v10, s[sgprSizeI]           // coord0 < size0
v_cmp_lt_u32 s[56:57], v11, s[sgprSizeJ]           // coord1 < size1
s_and_b64 s[56:57], s[54:55], s[56:57]             // in0 && in1
v_mul_lo_u32 v9, v9, s[sgprStrideD1J]              // coord1 element offset =  coord1 * StrideD
_v_add_lshl_u32 v9, v9, v10, 0x2                   // scale to BPE
v_cndmask_b32 v9, -1, v9, s[56:57]                 // clip if OOB. offset
_buffer_store_b128 v[12:15], v9, s[sgprSrdD:sgprSrdD+3], 0, offen, offset:0 // store D
s_waitcnt lgkmcnt(2)                               // wait for LDS read
_v_add_u32 v11, v5, 4                              // coord1 += nColPerLoad
_v_add_u32 v10, v4, 0                              // coord0 += element index of load vector
_v_add_u32 v9, v6, 4                               // offset coord1 += nColPerLoad
v_cmp_lt_u32 s[54:55], v10, s[sgprSizeI]           // coord0 < size0
v_cmp_lt_u32 s[56:57], v11, s[sgprSizeJ]           // coord1 < size1
s_and_b64 s[56:57], s[54:55], s[56:57]             // in0 && in1
v_mul_lo_u32 v9, v9, s[sgprStrideD1J]              // coord1 element offset =  coord1 * StrideD
_v_add_lshl_u32 v9, v9, v10, 0x2                   // scale to BPE
v_cndmask_b32 v9, -1, v9, s[56:57]                 // clip if OOB. offset
_buffer_store_b128 v[16:19], v9, s[sgprSrdD:sgprSrdD+3], 0, offen, offset:0 // store D
	;; [unrolled: 11-line block ×3, first 2 shown]
s_waitcnt lgkmcnt(0)                               // wait for LDS read
_v_add_u32 v11, v5, 12                             // coord1 += nColPerLoad
_v_add_u32 v10, v4, 0                              // coord0 += element index of load vector
_v_add_u32 v9, v6, 12                              // offset coord1 += nColPerLoad
v_cmp_lt_u32 s[54:55], v10, s[sgprSizeI]           // coord0 < size0
v_cmp_lt_u32 s[56:57], v11, s[sgprSizeJ]           // coord1 < size1
s_and_b64 s[56:57], s[54:55], s[56:57]             // in0 && in1
v_mul_lo_u32 v9, v9, s[sgprStrideD1J]              // coord1 element offset =  coord1 * StrideD
_v_add_lshl_u32 v9, v9, v10, 0x2                   // scale to BPE
v_cndmask_b32 v9, -1, v9, s[56:57]                 // clip if OOB. offset
_buffer_store_b128 v[24:27], v9, s[sgprSrdD:sgprSrdD+3], 0, offen, offset:0 // store D

s_nop 0                                            // 1 wait state required when next inst writes vgprs held by previous dwordx4 store inst
s_branch label_GW_End_54                           // jump to end
GW_Beta_55:
s_and_b32 s54, 63, s[sgprSizeI]                    // s54 = s[sgprSizeI] % 64
s_add_u32 s55, -0x1, s[sgprNumWorkGroups0]         // 
s_cmp_ge_u32 s[sgprWorkGroup0], s55                // wg0 >= nwg0-1 ?
s_cselect_b32 s54, s54, 0                          // set rMT0
s_cmpk_gt_u32 s54, 0x0                             // rMT0 > 0
s_cbranch_scc1 GW_B1_E1_53                         // jump if edges required
s_and_b32 s54, 63, s[sgprSizeJ]                    // s54 = s[sgprSizeJ] % 64
s_add_u32 s55, -0x1, s[sgprNumWorkGroups1]         // 
s_cmp_ge_u32 s[sgprWorkGroup1], s55                // wg1 >= nwg1-1
s_cselect_b32 s54, s54, 0                          // set rMT1
s_cmpk_gt_u32 s54, 0x0                             // rMT1 > 0
s_cbranch_scc1 GW_B1_E1_53                         // jump if edges required
GW_B1_E0_50:

/* edge=0, allocate 2 sgpr. perBatchTmpS=2 perBatchMaskS=0 perElementMaskS=0 elementsPerBatch=4 */
/* optSingleColVgpr=1 optSharedColVgpr=0 optSGPRUsage=BufferLoad_Mask optSrdIncForRow=1 */

/******************************************/
/* Global Write Alpha Beta Batch #0 (d1,d0,vc1,vc0) = */
/*    (0,0,0,0:vw4); (0,1,0,0:vw4); (0,2,0,0:vw4); (0,3,0,0:vw4) */
/******************************************/

/* calc coords, apply mask, and issue loads (if necessary) */
/* (d1,vc1,d0,vc0)=(0,0,0,0) */
_v_add_lshl_u32 v12, v2, v0, 0x2                   // optSingleColVgpr scaleToBpe: sharedAddrVgpr <- cinRowPtr + coord0, scaled by BPE. BSHERE:coord0=0, coord0Vgpr=0
_buffer_load_b128 v[16:19], v12, s[sgprSrdC:sgprSrdC+3], 0, offen offset:0 // load C for beta calc
/* (d1,vc1,d0,vc0)=(0,0,1,0) */
_buffer_load_b128 v[24:27], v12, s[sgprSrdC:sgprSrdC+3], 0, offen offset:64 // load C for beta calc
/* (d1,vc1,d0,vc0)=(0,0,2,0) */
	;; [unrolled: 2-line block ×3, first 2 shown]
_buffer_load_b128 v[48:51], v12, s[sgprSrdC:sgprSrdC+3], 0, offen offset:192 // load C for beta calc
_v_add_lshl_u32 v9, v3, v0, 0x2                    // optSingleColVgpr scaleToBpe: sharedAddrVgpr <- cinRowPtr + coord0, scaled by BPE. BSHERE:coord0=0, coord0Vgpr=0
v_accvgpr_read_b32 v[vgprValuC+20], acc0 // copy acc to vreg[0]
v_accvgpr_read_b32 v[vgprValuC+21], acc1 // copy acc to vreg[1]
v_accvgpr_read_b32 v[vgprValuC+22], acc2 // copy acc to vreg[2]
v_accvgpr_read_b32 v[vgprValuC+23], acc3 // copy acc to vreg[3]
v_accvgpr_read_b32 v[vgprValuC+28], acc4 // copy acc to vreg[4]
v_accvgpr_read_b32 v[vgprValuC+29], acc5 // copy acc to vreg[5]
v_accvgpr_read_b32 v[vgprValuC+30], acc6 // copy acc to vreg[6]
v_accvgpr_read_b32 v[vgprValuC+31], acc7 // copy acc to vreg[7]
v_accvgpr_read_b32 v[vgprValuC+36], acc8 // copy acc to vreg[8]
v_accvgpr_read_b32 v[vgprValuC+37], acc9 // copy acc to vreg[9]
v_accvgpr_read_b32 v[vgprValuC+38], acc10 // copy acc to vreg[10]
v_accvgpr_read_b32 v[vgprValuC+39], acc11 // copy acc to vreg[11]
v_accvgpr_read_b32 v[vgprValuC+52], acc12 // copy acc to vreg[12]
v_accvgpr_read_b32 v[vgprValuC+53], acc13 // copy acc to vreg[13]
v_accvgpr_read_b32 v[vgprValuC+54], acc14 // copy acc to vreg[14]
v_accvgpr_read_b32 v[vgprValuC+55], acc15 // copy acc to vreg[15]
s_nop 1                                            // 2 wait states required before reading vgpr

/* rC *= alpha batchElements=[(0, 0, 0, 0), (0, 1, 0, 0), (0, 2, 0, 0), (0, 3, 0, 0)] */
v_mul_f32 v[vgprValuC+20], s[sgprAlpha], v[vgprValuC+20] // *= alpha
v_mul_f32 v[vgprValuC+21], s[sgprAlpha], v[vgprValuC+21] // *= alpha
	;; [unrolled: 1-line block ×16, first 2 shown]

/* apply mask, calc new C and issue writes */

s_waitcnt vmcnt(3)                                 // wait C (interleaved) 3 = 4 - 0 + 0 - 1
_v_mac_f32 v[vgprValuC+20], v16, s[sgprBeta]       // finalSum = sum*alpha + C*beta
_v_mac_f32 v[vgprValuC+21], v17, s[sgprBeta]       // finalSum = sum*alpha + C*beta
	;; [unrolled: 1-line block ×4, first 2 shown]
_ds_store_b128 v7, v[20:23], offset:0              // storeRemap lw

s_waitcnt vmcnt(2)                                 // wait C (interleaved) 2 = 4 - 1 + 0 - 1
_v_mac_f32 v[vgprValuC+28], v24, s[sgprBeta]       // finalSum = sum*alpha + C*beta
_v_mac_f32 v[vgprValuC+29], v25, s[sgprBeta]       // finalSum = sum*alpha + C*beta
	;; [unrolled: 1-line block ×4, first 2 shown]
_ds_store_b128 v7, v[28:31], offset:64             // storeRemap lw

s_waitcnt vmcnt(1)                                 // wait C (interleaved) 1 = 4 - 2 + 0 - 1
_v_mac_f32 v[vgprValuC+36], v32, s[sgprBeta]       // finalSum = sum*alpha + C*beta
_v_mac_f32 v[vgprValuC+37], v33, s[sgprBeta]       // finalSum = sum*alpha + C*beta
	;; [unrolled: 1-line block ×4, first 2 shown]
_ds_store_b128 v7, v[36:39], offset:128            // storeRemap lw

s_waitcnt vmcnt(0)                                 // wait C (interleaved) 0 = 4 - 3 + 0 - 1
_v_mac_f32 v[vgprValuC+52], v48, s[sgprBeta]       // finalSum = sum*alpha + C*beta
_v_mac_f32 v[vgprValuC+53], v49, s[sgprBeta]       // finalSum = sum*alpha + C*beta
	;; [unrolled: 1-line block ×4, first 2 shown]
_ds_store_b128 v7, v[52:55], offset:192            // storeRemap lw

/* Handle local read and global write */
s_waitcnt lgkmcnt(0)                               // wait for LDS write

_ds_load_b128 v[16:19], v8, offset:0               // storeRemap lr
_ds_load_b128 v[20:23], v8, offset:1088            // storeRemap lr
_ds_load_b128 v[24:27], v8, offset:2176            // storeRemap lr
	;; [unrolled: 1-line block ×3, first 2 shown]

v_mov_b32 v13, v6                                  // coord1
v_mul_lo_u32 v13, v13, s[sgprStrideD1J]            // coord1 offset =  coord1 * StrideD
_v_add_lshl_u32 v13, v13, v4, 0x2                  // global write D address
s_waitcnt lgkmcnt(3)                               // wait for LDS read
_buffer_store_b128 v[16:19], v13, s[sgprSrdD:sgprSrdD+3], 0, offen, offset:0 // store D
_v_add_u32 v13, v6, 4                              // coord1 += nColPerLoad
v_mul_lo_u32 v13, v13, s[sgprStrideD1J]            // coord1 offset =  coord1 * StrideD
_v_add_lshl_u32 v13, v13, v4, 0x2                  // global write D address
s_waitcnt lgkmcnt(2)                               // wait for LDS read
_buffer_store_b128 v[20:23], v13, s[sgprSrdD:sgprSrdD+3], 0, offen, offset:0 // store D
_v_add_u32 v13, v6, 8                              // coord1 += nColPerLoad
v_mul_lo_u32 v13, v13, s[sgprStrideD1J]            // coord1 offset =  coord1 * StrideD
_v_add_lshl_u32 v13, v13, v4, 0x2                  // global write D address
s_waitcnt lgkmcnt(1)                               // wait for LDS read
_buffer_store_b128 v[24:27], v13, s[sgprSrdD:sgprSrdD+3], 0, offen, offset:0 // store D
_v_add_u32 v13, v6, 12                             // coord1 += nColPerLoad
v_mul_lo_u32 v13, v13, s[sgprStrideD1J]            // coord1 offset =  coord1 * StrideD
_v_add_lshl_u32 v13, v13, v4, 0x2                  // global write D address
s_waitcnt lgkmcnt(0)                               // wait for LDS read
_buffer_store_b128 v[28:31], v13, s[sgprSrdD:sgprSrdD+3], 0, offen, offset:0 // store D

s_nop 0                                            // 1 wait state required when next inst writes vgprs held by previous dwordx4 store inst
s_branch label_GW_End_54                           // jump to end
GW_B1_E1_53:

/* edge=1, allocate 6 sgpr. perBatchTmpS=4 perBatchMaskS=2 perElementMaskS=0 elementsPerBatch=4 */
/* optSingleColVgpr=0 optSharedColVgpr=0 optSGPRUsage=BufferLoad_Edge_Mask optSrdIncForRow=1 */

/******************************************/
/* Global Write Alpha Beta Edge Batch #0 (d1,d0,vc1,vc0) = */
/*    (0,0,0,0:vw4); (0,1,0,0:vw4); (0,2,0,0:vw4); (0,3,0,0:vw4) */
/******************************************/

/* calc coords, apply mask, and issue loads (if necessary) */
/* (d1,vc1,d0,vc0)=(0,0,0,0) */
v_cmp_lt_u32 s[54:55], v0, s[sgprSizeI]            // coord0 < size0
v_cmp_lt_u32 s[58:59], v1, s[sgprSizeJ]            // coord1 < size1
s_and_b64 s[58:59], s[54:55], s[58:59]             // in0 && in1
_v_add_lshl_u32 v9, v2, v0, 0x2                    // scaleToBpe: accumulate d0 lower and *= bpe into Cin addr
v_cndmask_b32 v9, -1, v9, s[58:59]                 // LDC clip if OOB. offset
_buffer_load_b128 v[12:15], v9, s[sgprSrdC:sgprSrdC+3], 0, offen offset:0 // load C for beta calc
_v_add_lshl_u32 v9, v3, v0, 0x2                    // scaleToBpe: accumulate d0 lower and *= bpe into Cin addr
v_cndmask_b32 v9, -1, v9, s[58:59]                 // LDD clip if OOB. offset
/* (d1,vc1,d0,vc0)=(0,0,1,0) */
_v_add_co_u32 v10, vcc, v0, 16                     // coord0.1: coord0 += d0*sg0*VW + vc0
v_cmp_lt_u32 s[54:55], v10, s[sgprSizeI]           // coord0 < size0
v_cmp_lt_u32 s[58:59], v1, s[sgprSizeJ]            // coord1 < size1
s_and_b64 s[58:59], s[54:55], s[58:59]             // in0 && in1
_v_add_lshl_u32 v20, v2, v10, 0x2                  // scaleToBpe: accumulate d0 lower and *= bpe into Cin addr
v_cndmask_b32 v20, -1, v20, s[58:59]               // LDC clip if OOB. offset
_buffer_load_b128 v[24:27], v20, s[sgprSrdC:sgprSrdC+3], 0, offen offset:0 // load C for beta calc
_v_add_lshl_u32 v20, v3, v10, 0x2                  // scaleToBpe: accumulate d0 lower and *= bpe into Cin addr
v_cndmask_b32 v20, -1, v20, s[58:59]               // LDD clip if OOB. offset
/* (d1,vc1,d0,vc0)=(0,0,2,0) */
_v_add_co_u32 v10, vcc, v0, 32                     // coord0.1: coord0 += d0*sg0*VW + vc0
v_cmp_lt_u32 s[54:55], v10, s[sgprSizeI]           // coord0 < size0
v_cmp_lt_u32 s[58:59], v1, s[sgprSizeJ]            // coord1 < size1
s_and_b64 s[58:59], s[54:55], s[58:59]             // in0 && in1
_v_add_lshl_u32 v21, v2, v10, 0x2                  // scaleToBpe: accumulate d0 lower and *= bpe into Cin addr
v_cndmask_b32 v21, -1, v21, s[58:59]               // LDC clip if OOB. offset
_buffer_load_b128 v[32:35], v21, s[sgprSrdC:sgprSrdC+3], 0, offen offset:0 // load C for beta calc
_v_add_lshl_u32 v21, v3, v10, 0x2                  // scaleToBpe: accumulate d0 lower and *= bpe into Cin addr
v_cndmask_b32 v21, -1, v21, s[58:59]               // LDD clip if OOB. offset
	;; [unrolled: 10-line block ×3, first 2 shown]
v_accvgpr_read_b32 v[vgprValuC+16], acc0 // copy acc to vreg[0]
v_accvgpr_read_b32 v[vgprValuC+17], acc1 // copy acc to vreg[1]
v_accvgpr_read_b32 v[vgprValuC+18], acc2 // copy acc to vreg[2]
v_accvgpr_read_b32 v[vgprValuC+19], acc3 // copy acc to vreg[3]
v_accvgpr_read_b32 v[vgprValuC+28], acc4 // copy acc to vreg[4]
v_accvgpr_read_b32 v[vgprValuC+29], acc5 // copy acc to vreg[5]
v_accvgpr_read_b32 v[vgprValuC+30], acc6 // copy acc to vreg[6]
v_accvgpr_read_b32 v[vgprValuC+31], acc7 // copy acc to vreg[7]
v_accvgpr_read_b32 v[vgprValuC+36], acc8 // copy acc to vreg[8]
v_accvgpr_read_b32 v[vgprValuC+37], acc9 // copy acc to vreg[9]
v_accvgpr_read_b32 v[vgprValuC+38], acc10 // copy acc to vreg[10]
v_accvgpr_read_b32 v[vgprValuC+39], acc11 // copy acc to vreg[11]
v_accvgpr_read_b32 v[vgprValuC+52], acc12 // copy acc to vreg[12]
v_accvgpr_read_b32 v[vgprValuC+53], acc13 // copy acc to vreg[13]
v_accvgpr_read_b32 v[vgprValuC+54], acc14 // copy acc to vreg[14]
v_accvgpr_read_b32 v[vgprValuC+55], acc15 // copy acc to vreg[15]
s_nop 1                                            // 2 wait states required before reading vgpr

/* rC *= alpha batchElements=[(0, 0, 0, 0), (0, 1, 0, 0), (0, 2, 0, 0), (0, 3, 0, 0)] */
v_mul_f32 v[vgprValuC+16], s[sgprAlpha], v[vgprValuC+16] // *= alpha
v_mul_f32 v[vgprValuC+17], s[sgprAlpha], v[vgprValuC+17] // *= alpha
	;; [unrolled: 1-line block ×16, first 2 shown]
s_waitcnt vmcnt(0)                                 // wait C

/* apply mask, calc new C and issue writes */
_v_mac_f32 v[vgprValuC+16], v12, s[sgprBeta]       // finalSum = sum*alpha + C*beta
_v_mac_f32 v[vgprValuC+17], v13, s[sgprBeta]       // finalSum = sum*alpha + C*beta
	;; [unrolled: 1-line block ×4, first 2 shown]
_ds_store_b128 v7, v[16:19], offset:0              // storeRemap lw
_v_mac_f32 v[vgprValuC+28], v24, s[sgprBeta]       // finalSum = sum*alpha + C*beta
_v_mac_f32 v[vgprValuC+29], v25, s[sgprBeta]       // finalSum = sum*alpha + C*beta
	;; [unrolled: 1-line block ×4, first 2 shown]
_ds_store_b128 v7, v[28:31], offset:64             // storeRemap lw
_v_mac_f32 v[vgprValuC+36], v32, s[sgprBeta]       // finalSum = sum*alpha + C*beta
_v_mac_f32 v[vgprValuC+37], v33, s[sgprBeta]       // finalSum = sum*alpha + C*beta
	;; [unrolled: 1-line block ×4, first 2 shown]
_ds_store_b128 v7, v[36:39], offset:128            // storeRemap lw
_v_mac_f32 v[vgprValuC+52], v48, s[sgprBeta]       // finalSum = sum*alpha + C*beta
_v_mac_f32 v[vgprValuC+53], v49, s[sgprBeta]       // finalSum = sum*alpha + C*beta
	;; [unrolled: 1-line block ×4, first 2 shown]
_ds_store_b128 v7, v[52:55], offset:192            // storeRemap lw

/* Handle local read and global write */
s_waitcnt lgkmcnt(0)                               // wait for LDS write

_ds_load_b128 v[12:15], v8, offset:0               // storeRemap lr
_ds_load_b128 v[16:19], v8, offset:1088            // storeRemap lr
_ds_load_b128 v[20:23], v8, offset:2176            // storeRemap lr
	;; [unrolled: 1-line block ×3, first 2 shown]

s_waitcnt lgkmcnt(3)                               // wait for LDS read
_v_add_u32 v11, v5, 0                              // coord1 += nColPerLoad
_v_add_u32 v10, v4, 0                              // coord0 += element index of load vector
_v_add_u32 v9, v6, 0                               // offset coord1 += nColPerLoad
v_cmp_lt_u32 s[54:55], v10, s[sgprSizeI]           // coord0 < size0
v_cmp_lt_u32 s[56:57], v11, s[sgprSizeJ]           // coord1 < size1
s_and_b64 s[56:57], s[54:55], s[56:57]             // in0 && in1
v_mul_lo_u32 v9, v9, s[sgprStrideD1J]              // coord1 element offset =  coord1 * StrideD
_v_add_lshl_u32 v9, v9, v10, 0x2                   // scale to BPE
v_cndmask_b32 v9, -1, v9, s[56:57]                 // clip if OOB. offset
_buffer_store_b128 v[12:15], v9, s[sgprSrdD:sgprSrdD+3], 0, offen, offset:0 // store D
s_waitcnt lgkmcnt(2)                               // wait for LDS read
_v_add_u32 v11, v5, 4                              // coord1 += nColPerLoad
_v_add_u32 v10, v4, 0                              // coord0 += element index of load vector
_v_add_u32 v9, v6, 4                               // offset coord1 += nColPerLoad
v_cmp_lt_u32 s[54:55], v10, s[sgprSizeI]           // coord0 < size0
v_cmp_lt_u32 s[56:57], v11, s[sgprSizeJ]           // coord1 < size1
s_and_b64 s[56:57], s[54:55], s[56:57]             // in0 && in1
v_mul_lo_u32 v9, v9, s[sgprStrideD1J]              // coord1 element offset =  coord1 * StrideD
_v_add_lshl_u32 v9, v9, v10, 0x2                   // scale to BPE
v_cndmask_b32 v9, -1, v9, s[56:57]                 // clip if OOB. offset
_buffer_store_b128 v[16:19], v9, s[sgprSrdD:sgprSrdD+3], 0, offen, offset:0 // store D
	;; [unrolled: 11-line block ×3, first 2 shown]
s_waitcnt lgkmcnt(0)                               // wait for LDS read
_v_add_u32 v11, v5, 12                             // coord1 += nColPerLoad
_v_add_u32 v10, v4, 0                              // coord0 += element index of load vector
_v_add_u32 v9, v6, 12                              // offset coord1 += nColPerLoad
v_cmp_lt_u32 s[54:55], v10, s[sgprSizeI]           // coord0 < size0
v_cmp_lt_u32 s[56:57], v11, s[sgprSizeJ]           // coord1 < size1
s_and_b64 s[56:57], s[54:55], s[56:57]             // in0 && in1
v_mul_lo_u32 v9, v9, s[sgprStrideD1J]              // coord1 element offset =  coord1 * StrideD
_v_add_lshl_u32 v9, v9, v10, 0x2                   // scale to BPE
v_cndmask_b32 v9, -1, v9, s[56:57]                 // clip if OOB. offset
_buffer_store_b128 v[24:27], v9, s[sgprSrdD:sgprSrdD+3], 0, offen, offset:0 // store D

s_nop 0                                            // 1 wait state required when next inst writes vgprs held by previous dwordx4 store inst
s_branch label_GW_End_54                           // jump to end
label_GW_End_54:

label_0059:  /// KernelEnd
s_endpgm                                           // Kernel End

